;; amdgpu-corpus repo=ROCm/MIOpen kind=compiled arch=gfx1250 opt=O3
	.amdgcn_target "amdgcn-amd-amdhsa--gfx1250"
	.amdhsa_code_object_version 6
	.text
	.protected	naive_conv_ab_packed_fwd_nchw_float_double_float ; -- Begin function naive_conv_ab_packed_fwd_nchw_float_double_float
	.globl	naive_conv_ab_packed_fwd_nchw_float_double_float
	.p2align	8
	.type	naive_conv_ab_packed_fwd_nchw_float_double_float,@function
naive_conv_ab_packed_fwd_nchw_float_double_float: ; @naive_conv_ab_packed_fwd_nchw_float_double_float
; %bb.0:
	s_load_b512 s[4:19], s[0:1], 0xa0
	s_bfe_u32 s2, ttmp6, 0x4000c
	s_and_b32 s3, ttmp6, 15
	s_add_co_i32 s2, s2, 1
	s_getreg_b32 s20, hwreg(HW_REG_IB_STS2, 6, 4)
	s_mul_i32 s2, ttmp9, s2
	s_mov_b32 s26, exec_lo
	s_add_co_i32 s3, s3, s2
	s_cmp_eq_u32 s20, 0
	s_cselect_b32 s20, ttmp9, s3
	s_wait_kmcnt 0x0
	s_abs_i32 s3, s7
	s_mul_i32 s33, s10, s9
	s_cvt_f32_u32 s2, s3
	s_delay_alu instid0(SALU_CYCLE_3) | instskip(SKIP_1) | instid1(TRANS32_DEP_1)
	v_rcp_iflag_f32_e32 v1, s2
	v_nop
	v_readfirstlane_b32 s2, v1
	s_mul_f32 s2, s2, 0x4f7ffffe
	s_delay_alu instid0(SALU_CYCLE_3) | instskip(SKIP_1) | instid1(SALU_CYCLE_2)
	s_cvt_u32_f32 s21, s2
	s_sub_co_i32 s2, 0, s3
	s_mul_i32 s2, s2, s21
	s_delay_alu instid0(SALU_CYCLE_1) | instskip(SKIP_2) | instid1(SALU_CYCLE_1)
	s_mul_hi_u32 s22, s21, s2
	s_abs_i32 s2, s20
	s_add_co_i32 s21, s21, s22
	s_mul_hi_u32 s21, s2, s21
	s_delay_alu instid0(SALU_CYCLE_1) | instskip(SKIP_2) | instid1(SALU_CYCLE_1)
	s_mul_i32 s22, s21, s3
	s_add_co_i32 s23, s21, 1
	s_sub_co_i32 s22, s2, s22
	s_sub_co_i32 s24, s22, s3
	s_cmp_ge_u32 s22, s3
	s_cselect_b32 s21, s23, s21
	s_cselect_b32 s22, s24, s22
	s_add_co_i32 s23, s21, 1
	s_cmp_ge_u32 s22, s3
	s_mul_i32 s22, s7, s6
	s_cselect_b32 s24, s23, s21
	s_abs_i32 s21, s6
	s_abs_i32 s6, s22
	s_cvt_f32_u32 s3, s21
	s_cvt_f32_u32 s23, s6
	s_delay_alu instid0(SALU_CYCLE_2) | instskip(NEXT) | instid1(SALU_CYCLE_2)
	v_rcp_iflag_f32_e32 v1, s3
	v_rcp_iflag_f32_e32 v2, s23
	s_mov_b32 s3, 0
	s_delay_alu instid0(TRANS32_DEP_2) | instskip(NEXT) | instid1(TRANS32_DEP_1)
	v_readfirstlane_b32 s25, v1
	v_readfirstlane_b32 s23, v2
	v_cmpx_gt_i32_e64 s33, v0
	s_cbranch_execz .LBB0_17
; %bb.1:
	s_ashr_i32 s28, s20, 31
	s_ashr_i32 s37, s7, 31
	s_mul_f32 s25, s25, 0x4f7ffffe
	s_xor_b32 s26, s28, s37
	s_mul_f32 s23, s23, 0x4f7ffffe
	s_xor_b32 s24, s24, s26
	s_cvt_u32_f32 s25, s25
	s_sub_co_i32 s29, s24, s26
	s_sub_co_i32 s24, 0, s21
	s_cvt_u32_f32 s23, s23
	s_mul_i32 s24, s24, s25
	s_sub_co_i32 s31, 0, s6
	s_mul_hi_u32 s26, s25, s24
	s_abs_i32 s24, s29
	s_add_co_i32 s26, s25, s26
	s_mov_b32 s25, s3
	s_mov_b32 s27, s3
	s_mul_i32 s31, s31, s23
	s_mul_u64 s[26:27], s[24:25], s[26:27]
	s_mul_hi_u32 s25, s23, s31
	s_ashr_i32 s26, s22, 31
	s_add_co_i32 s22, s23, s25
	s_mul_i32 s23, s27, s21
	s_ashr_i32 s30, s29, 31
	s_mul_i32 s29, s29, s7
	s_sub_co_i32 s23, s24, s23
	s_sub_co_i32 s38, s20, s29
	;; [unrolled: 1-line block ×3, first 2 shown]
	s_cmp_ge_u32 s23, s21
	s_mov_b32 s34, s5
	s_cselect_b32 s20, s20, s23
	s_mov_b32 s36, s7
	s_sub_co_i32 s23, s20, s21
	s_cmp_ge_u32 s20, s21
	v_mov_b32_e32 v3, 0
	s_cselect_b32 s20, s23, s20
	s_mov_b32 s23, s3
	s_xor_b32 s24, s20, s30
	s_mul_u64 s[20:21], s[2:3], s[22:23]
	s_sub_co_i32 s40, s24, s30
	s_mul_i32 s20, s21, s6
	s_xor_b32 s30, s28, s26
	s_sub_co_i32 s2, s2, s20
	s_add_co_i32 s20, s21, 1
	s_sub_co_i32 s22, s2, s6
	s_cmp_ge_u32 s2, s6
	s_cselect_b32 s28, s20, s21
	s_cselect_b32 s2, s22, s2
	s_add_co_i32 s29, s28, 1
	s_cmp_ge_u32 s2, s6
	s_load_b256 s[20:27], s[0:1], 0x0
	s_cselect_b32 s2, s29, s28
	s_mul_i32 s28, s19, s8
	s_xor_b32 s2, s2, s30
	s_ashr_i32 s41, s40, 31
	s_sub_co_i32 s42, s2, s30
	s_ashr_i32 s29, s28, 31
	s_ashr_i32 s43, s42, 31
	;; [unrolled: 1-line block ×3, first 2 shown]
	s_mov_b32 s30, s8
	s_mul_u64 s[44:45], s[40:41], s[28:29]
	s_ashr_i32 s29, s4, 31
	s_mov_b32 s28, s4
	s_ashr_i32 s35, s5, 31
	s_mul_u64 s[46:47], s[42:43], s[30:31]
	s_mul_i32 s6, s19, s7
	s_add_nc_u64 s[4:5], s[46:47], s[44:45]
	s_mul_u64 s[44:45], s[34:35], s[28:29]
	s_ashr_i32 s39, s38, 31
	s_mul_u64 s[4:5], s[44:45], s[4:5]
	s_ashr_i32 s7, s6, 31
	s_lshl_b64 s[44:45], s[4:5], 2
	s_mul_u64 s[4:5], s[42:43], s[36:37]
	s_mul_u64 s[6:7], s[40:41], s[6:7]
	s_add_nc_u64 s[36:37], s[4:5], s[38:39]
	s_ashr_i32 s39, s9, 31
	s_mov_b32 s38, s9
	s_ashr_i32 s5, s10, 31
	s_mov_b32 s4, s10
	s_add_nc_u64 s[40:41], s[36:37], s[6:7]
	s_mul_u64 s[38:39], s[4:5], s[38:39]
	s_ashr_i32 s7, s17, 31
	s_mul_u64 s[38:39], s[38:39], s[40:41]
	s_ashr_i32 s19, s18, 31
	s_lshl_b64 s[38:39], s[38:39], 2
	s_cmp_gt_i32 s8, 0
	s_wait_kmcnt 0x0
	v_cmp_neq_f64_e64 s42, s[24:25], 1.0
	s_cselect_b32 s50, -1, 0
	s_cmp_gt_i32 s17, 0
	v_cmp_neq_f64_e64 s43, s[26:27], 0
	s_cselect_b32 s51, -1, 0
	s_cmp_gt_i32 s18, 0
	s_load_b64 s[40:41], s[0:1], 0x20
	s_cselect_b32 s52, -1, 0
	s_abs_i32 s10, s10
	s_wait_xcnt 0x0
	s_load_b32 s0, s[0:1], 0xec
	s_cvt_f32_u32 s2, s10
	s_mov_b32 s6, s17
	s_add_nc_u64 s[8:9], s[20:21], s[44:45]
	s_mov_b32 s17, 0
	v_rcp_iflag_f32_e32 v1, s2
	s_wait_xcnt 0x0
	v_nop
	s_delay_alu instid0(TRANS32_DEP_1)
	v_readfirstlane_b32 s1, v1
	s_mul_f32 s1, s1, 0x4f7ffffe
	s_wait_kmcnt 0x0
	s_add_nc_u64 s[20:21], s[40:41], s[38:39]
	s_mul_u64 s[38:39], s[18:19], s[6:7]
	s_cvt_u32_f32 s2, s1
	s_and_b32 s1, s0, 0xffff
	s_sub_co_i32 s0, 0, s10
	s_mul_u64 s[36:37], s[38:39], s[36:37]
	s_mul_i32 s0, s0, s2
	s_mul_u64 s[40:41], s[36:37], s[30:31]
	s_mul_hi_u32 s0, s2, s0
	s_lshl_b64 s[40:41], s[40:41], 2
	s_add_co_i32 s36, s2, s0
	s_mov_b32 s37, s3
	s_add_nc_u64 s[22:23], s[22:23], s[40:41]
	s_or_b32 s7, s42, s43
	s_lshl_b64 s[38:39], s[38:39], 2
	s_lshl_b64 s[40:41], s[18:19], 2
	s_branch .LBB0_3
.LBB0_2:                                ;   in Loop: Header=BB0_3 Depth=1
	s_delay_alu instid0(VALU_DEP_1) | instskip(SKIP_1) | instid1(VALU_DEP_1)
	v_cvt_f32_f64_e32 v1, v[4:5]
	v_add_nc_u32_e32 v0, s1, v0
	v_cmp_le_i32_e32 vcc_lo, s33, v0
	s_or_b32 s17, vcc_lo, s17
	global_store_b32 v[6:7], v1, off
	s_wait_xcnt 0x0
	s_and_not1_b32 exec_lo, exec_lo, s17
	s_cbranch_execz .LBB0_17
.LBB0_3:                                ; =>This Loop Header: Depth=1
                                        ;     Child Loop BB0_6 Depth 2
                                        ;       Child Loop BB0_9 Depth 3
                                        ;         Child Loop BB0_12 Depth 4
	v_sub_nc_u32_e32 v1, 0, v0
	s_delay_alu instid0(VALU_DEP_1) | instskip(NEXT) | instid1(VALU_DEP_1)
	v_max_i32_e32 v2, v0, v1
	v_mul_u64_e32 v[4:5], s[36:37], v[2:3]
	s_delay_alu instid0(VALU_DEP_1) | instskip(NEXT) | instid1(VALU_DEP_1)
	v_mul_lo_u32 v1, v5, s10
	v_sub_nc_u32_e32 v1, v2, v1
	v_add_nc_u32_e32 v2, 1, v5
	s_delay_alu instid0(VALU_DEP_2) | instskip(NEXT) | instid1(VALU_DEP_2)
	v_cmp_le_u32_e32 vcc_lo, s10, v1
	v_cndmask_b32_e32 v2, v5, v2, vcc_lo
	v_subrev_nc_u32_e32 v4, s10, v1
	v_ashrrev_i32_e32 v5, 31, v0
	s_delay_alu instid0(VALU_DEP_2) | instskip(NEXT) | instid1(VALU_DEP_1)
	v_dual_cndmask_b32 v1, v1, v4 :: v_dual_add_nc_u32 v4, 1, v2
	v_cmp_le_u32_e32 vcc_lo, s10, v1
	s_delay_alu instid0(VALU_DEP_2) | instskip(SKIP_1) | instid1(VALU_DEP_1)
	v_dual_cndmask_b32 v1, v2, v4, vcc_lo :: v_dual_bitop2_b32 v5, s5, v5 bitop3:0x14
	s_and_not1_b32 vcc_lo, exec_lo, s50
	v_xor_b32_e32 v1, v1, v5
	s_delay_alu instid0(VALU_DEP_1) | instskip(NEXT) | instid1(VALU_DEP_1)
	v_sub_nc_u32_e32 v8, v1, v5
	v_mul_lo_u32 v1, v8, s4
	s_delay_alu instid0(VALU_DEP_1)
	v_sub_nc_u32_e32 v6, v0, v1
	s_cbranch_vccnz .LBB0_14
; %bb.4:                                ;   in Loop: Header=BB0_3 Depth=1
	v_mul_lo_u32 v1, v8, s11
	s_delay_alu instid0(VALU_DEP_2) | instskip(SKIP_3) | instid1(VALU_DEP_3)
	v_mul_lo_u32 v2, v6, s12
	v_mov_b64_e32 v[4:5], 0
	s_mov_b32 s2, 0
	s_mov_b64 s[42:43], s[22:23]
	v_subrev_nc_u32_e32 v1, s15, v1
	s_delay_alu instid0(VALU_DEP_3)
	v_subrev_nc_u32_e32 v7, s16, v2
	s_branch .LBB0_6
.LBB0_5:                                ;   in Loop: Header=BB0_6 Depth=2
	s_add_co_i32 s2, s2, 1
	s_add_nc_u64 s[42:43], s[42:43], s[38:39]
	s_cmp_eq_u32 s2, s30
	s_cbranch_scc1 .LBB0_15
.LBB0_6:                                ;   Parent Loop BB0_3 Depth=1
                                        ; =>  This Loop Header: Depth=2
                                        ;       Child Loop BB0_9 Depth 3
                                        ;         Child Loop BB0_12 Depth 4
	s_and_not1_b32 vcc_lo, exec_lo, s51
	s_cbranch_vccnz .LBB0_5
; %bb.7:                                ;   in Loop: Header=BB0_6 Depth=2
	s_mul_u64 s[44:45], s[2:3], s[28:29]
	s_mov_b32 s19, 0
	s_mov_b64 s[46:47], s[42:43]
	s_branch .LBB0_9
.LBB0_8:                                ;   in Loop: Header=BB0_9 Depth=3
	s_add_co_i32 s19, s19, 1
	s_add_nc_u64 s[46:47], s[46:47], s[40:41]
	s_cmp_eq_u32 s19, s6
	s_cbranch_scc1 .LBB0_5
.LBB0_9:                                ;   Parent Loop BB0_3 Depth=1
                                        ;     Parent Loop BB0_6 Depth=2
                                        ; =>    This Loop Header: Depth=3
                                        ;         Child Loop BB0_12 Depth 4
	s_and_not1_b32 vcc_lo, exec_lo, s52
	s_cbranch_vccnz .LBB0_8
; %bb.10:                               ;   in Loop: Header=BB0_9 Depth=3
	v_mad_u32 v2, s19, s13, v1
	s_mov_b64 s[48:49], s[46:47]
	s_mov_b32 s53, s18
	s_delay_alu instid0(VALU_DEP_1)
	v_add_nc_u64_e32 v[10:11], s[44:45], v[2:3]
	v_cmp_gt_i32_e32 vcc_lo, 0, v2
	v_cmp_le_i32_e64 s0, s28, v2
	v_mov_b32_e32 v2, v7
	s_or_b32 s31, vcc_lo, s0
	v_mul_u64_e32 v[10:11], s[34:35], v[10:11]
	s_delay_alu instid0(VALU_DEP_1)
	v_lshl_add_u64 v[10:11], v[10:11], 2, s[8:9]
	s_branch .LBB0_12
.LBB0_11:                               ;   in Loop: Header=BB0_12 Depth=4
	s_or_b32 exec_lo, exec_lo, s0
	v_add_nc_u32_e32 v2, s14, v2
	s_add_co_i32 s53, s53, -1
	s_add_nc_u64 s[48:49], s[48:49], 4
	s_cmp_eq_u32 s53, 0
	s_cbranch_scc1 .LBB0_8
.LBB0_12:                               ;   Parent Loop BB0_3 Depth=1
                                        ;     Parent Loop BB0_6 Depth=2
                                        ;       Parent Loop BB0_9 Depth=3
                                        ; =>      This Inner Loop Header: Depth=4
	v_cmp_gt_i32_e32 vcc_lo, 0, v2
	v_cmp_le_i32_e64 s0, s34, v2
	s_or_b32 s0, vcc_lo, s0
	s_delay_alu instid0(SALU_CYCLE_1) | instskip(NEXT) | instid1(SALU_CYCLE_1)
	s_nor_b32 s54, s31, s0
	s_and_saveexec_b32 s0, s54
	s_cbranch_execz .LBB0_11
; %bb.13:                               ;   in Loop: Header=BB0_12 Depth=4
	v_lshl_add_u64 v[12:13], v[2:3], 2, v[10:11]
	s_load_b32 s54, s[48:49], 0x0
	global_load_b32 v9, v[12:13], off
	s_wait_kmcnt 0x0
	v_cvt_f64_f32_e32 v[14:15], s54
	s_wait_loadcnt 0x0
	s_wait_xcnt 0x0
	v_cvt_f64_f32_e32 v[12:13], v9
	s_delay_alu instid0(VALU_DEP_1)
	v_fmac_f64_e32 v[4:5], v[12:13], v[14:15]
	s_branch .LBB0_11
.LBB0_14:                               ;   in Loop: Header=BB0_3 Depth=1
	v_mov_b64_e32 v[4:5], 0
.LBB0_15:                               ;   in Loop: Header=BB0_3 Depth=1
	s_delay_alu instid0(VALU_DEP_2) | instskip(SKIP_1) | instid1(VALU_DEP_1)
	v_dual_ashrrev_i32 v9, 31, v8 :: v_dual_ashrrev_i32 v7, 31, v6
	s_and_not1_b32 vcc_lo, exec_lo, s7
	v_mul_u64_e32 v[8:9], s[4:5], v[8:9]
	s_delay_alu instid0(VALU_DEP_1) | instskip(NEXT) | instid1(VALU_DEP_1)
	v_lshl_add_u64 v[8:9], v[8:9], 2, s[20:21]
	v_lshl_add_u64 v[6:7], v[6:7], 2, v[8:9]
	s_cbranch_vccnz .LBB0_2
; %bb.16:                               ;   in Loop: Header=BB0_3 Depth=1
	global_load_b32 v1, v[6:7], off
	s_wait_loadcnt 0x0
	v_cvt_f64_f32_e32 v[8:9], v1
	s_delay_alu instid0(VALU_DEP_1) | instskip(NEXT) | instid1(VALU_DEP_1)
	v_mul_f64_e32 v[8:9], s[26:27], v[8:9]
	v_fmac_f64_e32 v[8:9], s[24:25], v[4:5]
	s_delay_alu instid0(VALU_DEP_1)
	v_mov_b64_e32 v[4:5], v[8:9]
	s_branch .LBB0_2
.LBB0_17:
	s_endpgm
	.section	.rodata,"a",@progbits
	.p2align	6, 0x0
	.amdhsa_kernel naive_conv_ab_packed_fwd_nchw_float_double_float
		.amdhsa_group_segment_fixed_size 0
		.amdhsa_private_segment_fixed_size 0
		.amdhsa_kernarg_size 480
		.amdhsa_user_sgpr_count 2
		.amdhsa_user_sgpr_dispatch_ptr 0
		.amdhsa_user_sgpr_queue_ptr 0
		.amdhsa_user_sgpr_kernarg_segment_ptr 1
		.amdhsa_user_sgpr_dispatch_id 0
		.amdhsa_user_sgpr_kernarg_preload_length 0
		.amdhsa_user_sgpr_kernarg_preload_offset 0
		.amdhsa_user_sgpr_private_segment_size 0
		.amdhsa_wavefront_size32 1
		.amdhsa_uses_dynamic_stack 0
		.amdhsa_enable_private_segment 0
		.amdhsa_system_sgpr_workgroup_id_x 1
		.amdhsa_system_sgpr_workgroup_id_y 0
		.amdhsa_system_sgpr_workgroup_id_z 0
		.amdhsa_system_sgpr_workgroup_info 0
		.amdhsa_system_vgpr_workitem_id 0
		.amdhsa_next_free_vgpr 16
		.amdhsa_next_free_sgpr 55
		.amdhsa_named_barrier_count 0
		.amdhsa_reserve_vcc 1
		.amdhsa_float_round_mode_32 0
		.amdhsa_float_round_mode_16_64 0
		.amdhsa_float_denorm_mode_32 3
		.amdhsa_float_denorm_mode_16_64 3
		.amdhsa_fp16_overflow 0
		.amdhsa_memory_ordered 1
		.amdhsa_forward_progress 1
		.amdhsa_inst_pref_size 11
		.amdhsa_round_robin_scheduling 0
		.amdhsa_exception_fp_ieee_invalid_op 0
		.amdhsa_exception_fp_denorm_src 0
		.amdhsa_exception_fp_ieee_div_zero 0
		.amdhsa_exception_fp_ieee_overflow 0
		.amdhsa_exception_fp_ieee_underflow 0
		.amdhsa_exception_fp_ieee_inexact 0
		.amdhsa_exception_int_div_zero 0
	.end_amdhsa_kernel
	.text
.Lfunc_end0:
	.size	naive_conv_ab_packed_fwd_nchw_float_double_float, .Lfunc_end0-naive_conv_ab_packed_fwd_nchw_float_double_float
                                        ; -- End function
	.set naive_conv_ab_packed_fwd_nchw_float_double_float.num_vgpr, 16
	.set naive_conv_ab_packed_fwd_nchw_float_double_float.num_agpr, 0
	.set naive_conv_ab_packed_fwd_nchw_float_double_float.numbered_sgpr, 55
	.set naive_conv_ab_packed_fwd_nchw_float_double_float.num_named_barrier, 0
	.set naive_conv_ab_packed_fwd_nchw_float_double_float.private_seg_size, 0
	.set naive_conv_ab_packed_fwd_nchw_float_double_float.uses_vcc, 1
	.set naive_conv_ab_packed_fwd_nchw_float_double_float.uses_flat_scratch, 0
	.set naive_conv_ab_packed_fwd_nchw_float_double_float.has_dyn_sized_stack, 0
	.set naive_conv_ab_packed_fwd_nchw_float_double_float.has_recursion, 0
	.set naive_conv_ab_packed_fwd_nchw_float_double_float.has_indirect_call, 0
	.section	.AMDGPU.csdata,"",@progbits
; Kernel info:
; codeLenInByte = 1328
; TotalNumSgprs: 57
; NumVgprs: 16
; ScratchSize: 0
; MemoryBound: 0
; FloatMode: 240
; IeeeMode: 1
; LDSByteSize: 0 bytes/workgroup (compile time only)
; SGPRBlocks: 0
; VGPRBlocks: 0
; NumSGPRsForWavesPerEU: 57
; NumVGPRsForWavesPerEU: 16
; NamedBarCnt: 0
; Occupancy: 16
; WaveLimiterHint : 0
; COMPUTE_PGM_RSRC2:SCRATCH_EN: 0
; COMPUTE_PGM_RSRC2:USER_SGPR: 2
; COMPUTE_PGM_RSRC2:TRAP_HANDLER: 0
; COMPUTE_PGM_RSRC2:TGID_X_EN: 1
; COMPUTE_PGM_RSRC2:TGID_Y_EN: 0
; COMPUTE_PGM_RSRC2:TGID_Z_EN: 0
; COMPUTE_PGM_RSRC2:TIDIG_COMP_CNT: 0
	.text
	.protected	naive_conv_ab_nonpacked_fwd_nchw_float_double_float ; -- Begin function naive_conv_ab_nonpacked_fwd_nchw_float_double_float
	.globl	naive_conv_ab_nonpacked_fwd_nchw_float_double_float
	.p2align	8
	.type	naive_conv_ab_nonpacked_fwd_nchw_float_double_float,@function
naive_conv_ab_nonpacked_fwd_nchw_float_double_float: ; @naive_conv_ab_nonpacked_fwd_nchw_float_double_float
; %bb.0:
	s_load_b256 s[20:27], s[0:1], 0xa0
	s_bfe_u32 s2, ttmp6, 0x4000c
	s_and_b32 s3, ttmp6, 15
	s_add_co_i32 s2, s2, 1
	s_getreg_b32 s4, hwreg(HW_REG_IB_STS2, 6, 4)
	s_mul_i32 s2, ttmp9, s2
	s_mov_b32 s10, exec_lo
	s_add_co_i32 s3, s3, s2
	s_cmp_eq_u32 s4, 0
	s_cselect_b32 s4, ttmp9, s3
	s_wait_kmcnt 0x0
	s_abs_i32 s3, s23
	s_mul_i32 s25, s26, s25
	s_cvt_f32_u32 s2, s3
	s_delay_alu instid0(SALU_CYCLE_3) | instskip(SKIP_1) | instid1(TRANS32_DEP_1)
	v_rcp_iflag_f32_e32 v1, s2
	v_nop
	v_readfirstlane_b32 s2, v1
	s_mul_f32 s2, s2, 0x4f7ffffe
	s_delay_alu instid0(SALU_CYCLE_3) | instskip(SKIP_1) | instid1(SALU_CYCLE_2)
	s_cvt_u32_f32 s5, s2
	s_sub_co_i32 s2, 0, s3
	s_mul_i32 s2, s2, s5
	s_delay_alu instid0(SALU_CYCLE_1) | instskip(SKIP_2) | instid1(SALU_CYCLE_1)
	s_mul_hi_u32 s6, s5, s2
	s_abs_i32 s2, s4
	s_add_co_i32 s5, s5, s6
	s_mul_hi_u32 s5, s2, s5
	s_delay_alu instid0(SALU_CYCLE_1) | instskip(SKIP_2) | instid1(SALU_CYCLE_1)
	s_mul_i32 s6, s5, s3
	s_add_co_i32 s7, s5, 1
	s_sub_co_i32 s6, s2, s6
	s_sub_co_i32 s8, s6, s3
	s_cmp_ge_u32 s6, s3
	s_cselect_b32 s5, s7, s5
	s_cselect_b32 s6, s8, s6
	s_add_co_i32 s7, s5, 1
	s_cmp_ge_u32 s6, s3
	s_mul_i32 s6, s23, s22
	s_cselect_b32 s8, s7, s5
	s_abs_i32 s5, s22
	s_abs_i32 s22, s6
	s_cvt_f32_u32 s3, s5
	s_cvt_f32_u32 s7, s22
	s_delay_alu instid0(SALU_CYCLE_2) | instskip(NEXT) | instid1(SALU_CYCLE_2)
	v_rcp_iflag_f32_e32 v1, s3
	v_rcp_iflag_f32_e32 v2, s7
	s_mov_b32 s3, 0
	s_delay_alu instid0(TRANS32_DEP_2) | instskip(NEXT) | instid1(TRANS32_DEP_1)
	v_readfirstlane_b32 s9, v1
	v_readfirstlane_b32 s7, v2
	v_cmpx_gt_i32_e64 s25, v0
	s_cbranch_execz .LBB1_17
; %bb.1:
	s_ashr_i32 s33, s4, 31
	s_ashr_i32 s10, s23, 31
	s_mul_f32 s9, s9, 0x4f7ffffe
	s_xor_b32 s10, s33, s10
	s_mul_f32 s7, s7, 0x4f7ffffe
	s_xor_b32 s8, s8, s10
	s_cvt_u32_f32 s9, s9
	s_sub_co_i32 s12, s8, s10
	s_sub_co_i32 s8, 0, s5
	s_cvt_u32_f32 s7, s7
	s_mul_i32 s8, s8, s9
	s_sub_co_i32 s13, 0, s22
	s_mul_hi_u32 s10, s9, s8
	s_abs_i32 s8, s12
	s_add_co_i32 s10, s9, s10
	s_mov_b32 s9, s3
	s_mov_b32 s11, s3
	s_mul_i32 s13, s13, s7
	s_mul_u64 s[10:11], s[8:9], s[10:11]
	s_mul_hi_u32 s9, s7, s13
	s_ashr_i32 s38, s6, 31
	s_add_co_i32 s6, s7, s9
	s_mul_i32 s7, s11, s5
	s_ashr_i32 s35, s12, 31
	s_mul_i32 s12, s12, s23
	s_sub_co_i32 s7, s8, s7
	s_sub_co_i32 s34, s4, s12
	;; [unrolled: 1-line block ×3, first 2 shown]
	s_cmp_ge_u32 s7, s5
	s_clause 0x1
	s_load_b64 s[52:53], s[0:1], 0x98
	s_load_b128 s[28:31], s[0:1], 0x88
	s_cselect_b32 s4, s4, s7
	s_mov_b32 s7, s3
	s_sub_co_i32 s8, s4, s5
	s_cmp_ge_u32 s4, s5
	s_mul_u64 s[36:37], s[2:3], s[6:7]
	s_cselect_b32 s23, s8, s4
	s_load_b512 s[4:19], s[0:1], 0x28
	s_xor_b32 s23, s23, s35
	s_xor_b32 s33, s33, s38
	s_sub_co_i32 s54, s23, s35
	s_mul_i32 s23, s37, s22
	s_load_b256 s[44:51], s[0:1], 0x0
	s_sub_co_i32 s2, s2, s23
	s_add_co_i32 s23, s37, 1
	s_sub_co_i32 s35, s2, s22
	s_cmp_ge_u32 s2, s22
	s_load_b64 s[64:65], s[0:1], 0x20
	s_cselect_b32 s23, s23, s37
	s_load_b256 s[36:43], s[0:1], 0xc0
	s_cselect_b32 s2, s35, s2
	s_add_co_i32 s35, s23, 1
	s_cmp_ge_u32 s2, s22
	s_load_b32 s66, s[0:1], 0xec
	s_cselect_b32 s2, s35, s23
	s_ashr_i32 s55, s54, 31
	s_xor_b32 s2, s2, s33
	s_ashr_i32 s35, s34, 31
	s_sub_co_i32 s22, s2, s33
	s_wait_kmcnt 0x0
	s_mul_u64 s[12:13], s[12:13], s[54:55]
	s_ashr_i32 s23, s22, 31
	s_mul_u64 s[52:53], s[52:53], s[54:55]
	s_mul_u64 s[10:11], s[10:11], s[22:23]
	;; [unrolled: 1-line block ×4, first 2 shown]
	s_lshl_b64 s[12:13], s[12:13], 2
	s_lshl_b64 s[10:11], s[10:11], 2
	;; [unrolled: 1-line block ×5, first 2 shown]
	s_cmp_gt_i32 s24, 0
	v_cmp_neq_f64_e64 s67, s[50:51], 0
	s_cselect_b32 s33, -1, 0
	s_cmp_gt_i32 s41, 0
	s_load_b256 s[52:59], s[0:1], 0x68
	s_cselect_b32 s43, -1, 0
	s_cmp_gt_i32 s42, 0
	s_wait_xcnt 0x0
	s_add_nc_u64 s[0:1], s[44:45], s[12:13]
	s_cselect_b32 s60, -1, 0
	s_abs_i32 s61, s26
	s_add_nc_u64 s[12:13], s[64:65], s[62:63]
	s_cvt_f32_u32 s2, s61
	s_add_nc_u64 s[10:11], s[0:1], s[10:11]
	s_add_nc_u64 s[0:1], s[12:13], s[30:31]
	v_mov_b32_e32 v3, 0
	v_rcp_iflag_f32_e32 v1, s2
	v_cmp_neq_f64_e64 s2, s[48:49], 1.0
	s_add_nc_u64 s[12:13], s[0:1], s[28:29]
	s_sub_co_i32 s0, 0, s61
	s_and_b32 s1, s66, 0xffff
	s_ashr_i32 s62, s26, 31
	s_lshl_b64 s[18:19], s[18:19], 2
	v_readfirstlane_b32 s68, v1
	s_lshl_b64 s[16:17], s[16:17], 2
	s_wait_kmcnt 0x0
	s_mul_u64 s[28:29], s[52:53], s[34:35]
	s_mul_u64 s[22:23], s[54:55], s[22:23]
	s_lshl_b64 s[28:29], s[28:29], 2
	s_mul_f32 s44, s68, 0x4f7ffffe
	s_lshl_b64 s[30:31], s[22:23], 2
	s_mov_b32 s23, s3
	s_add_nc_u64 s[28:29], s[28:29], s[30:31]
	s_cvt_u32_f32 s44, s44
	s_add_nc_u64 s[28:29], s[46:47], s[28:29]
	s_lshl_b64 s[14:15], s[14:15], 2
	s_mov_b32 s53, 0
	s_mul_i32 s0, s0, s44
	s_delay_alu instid0(SALU_CYCLE_1) | instskip(NEXT) | instid1(SALU_CYCLE_1)
	s_mul_hi_u32 s0, s44, s0
	s_add_co_i32 s22, s44, s0
	s_or_b32 s52, s2, s67
	s_branch .LBB1_3
.LBB1_2:                                ;   in Loop: Header=BB1_3 Depth=1
	s_delay_alu instid0(VALU_DEP_1) | instskip(SKIP_1) | instid1(VALU_DEP_1)
	v_cvt_f32_f64_e32 v1, v[4:5]
	v_add_nc_u32_e32 v0, s1, v0
	v_cmp_le_i32_e32 vcc_lo, s25, v0
	s_or_b32 s53, vcc_lo, s53
	global_store_b32 v[6:7], v1, off
	s_wait_xcnt 0x0
	s_and_not1_b32 exec_lo, exec_lo, s53
	s_cbranch_execz .LBB1_17
.LBB1_3:                                ; =>This Loop Header: Depth=1
                                        ;     Child Loop BB1_6 Depth 2
                                        ;       Child Loop BB1_9 Depth 3
                                        ;         Child Loop BB1_12 Depth 4
	v_sub_nc_u32_e32 v1, 0, v0
	s_delay_alu instid0(VALU_DEP_1) | instskip(NEXT) | instid1(VALU_DEP_1)
	v_max_i32_e32 v2, v0, v1
	v_mul_u64_e32 v[4:5], s[22:23], v[2:3]
	s_delay_alu instid0(VALU_DEP_1) | instskip(NEXT) | instid1(VALU_DEP_1)
	v_mul_lo_u32 v1, v5, s61
	v_sub_nc_u32_e32 v1, v2, v1
	v_add_nc_u32_e32 v2, 1, v5
	s_delay_alu instid0(VALU_DEP_2) | instskip(NEXT) | instid1(VALU_DEP_2)
	v_cmp_le_u32_e32 vcc_lo, s61, v1
	v_cndmask_b32_e32 v2, v5, v2, vcc_lo
	v_subrev_nc_u32_e32 v4, s61, v1
	v_ashrrev_i32_e32 v5, 31, v0
	s_delay_alu instid0(VALU_DEP_2) | instskip(NEXT) | instid1(VALU_DEP_1)
	v_dual_cndmask_b32 v1, v1, v4 :: v_dual_add_nc_u32 v4, 1, v2
	v_cmp_le_u32_e32 vcc_lo, s61, v1
	s_delay_alu instid0(VALU_DEP_2) | instskip(SKIP_1) | instid1(VALU_DEP_1)
	v_dual_cndmask_b32 v1, v2, v4, vcc_lo :: v_dual_bitop2_b32 v5, s62, v5 bitop3:0x14
	s_and_not1_b32 vcc_lo, exec_lo, s33
	v_xor_b32_e32 v1, v1, v5
	s_delay_alu instid0(VALU_DEP_1) | instskip(NEXT) | instid1(VALU_DEP_1)
	v_sub_nc_u32_e32 v6, v1, v5
	v_mul_lo_u32 v1, v6, s26
	s_delay_alu instid0(VALU_DEP_1)
	v_sub_nc_u32_e32 v8, v0, v1
	s_cbranch_vccnz .LBB1_14
; %bb.4:                                ;   in Loop: Header=BB1_3 Depth=1
	v_mul_lo_u32 v1, v6, s27
	s_delay_alu instid0(VALU_DEP_2) | instskip(SKIP_3) | instid1(VALU_DEP_3)
	v_mul_lo_u32 v2, v8, s36
	v_mov_b64_e32 v[4:5], 0
	s_mov_b32 s2, 0
	s_mov_b64 s[30:31], s[28:29]
	v_subrev_nc_u32_e32 v1, s39, v1
	s_delay_alu instid0(VALU_DEP_3)
	v_subrev_nc_u32_e32 v7, s40, v2
	s_branch .LBB1_6
.LBB1_5:                                ;   in Loop: Header=BB1_6 Depth=2
	s_add_co_i32 s2, s2, 1
	s_add_nc_u64 s[30:31], s[30:31], s[18:19]
	s_cmp_eq_u32 s2, s24
	s_cbranch_scc1 .LBB1_15
.LBB1_6:                                ;   Parent Loop BB1_3 Depth=1
                                        ; =>  This Loop Header: Depth=2
                                        ;       Child Loop BB1_9 Depth 3
                                        ;         Child Loop BB1_12 Depth 4
	s_and_not1_b32 vcc_lo, exec_lo, s43
	s_cbranch_vccnz .LBB1_5
; %bb.7:                                ;   in Loop: Header=BB1_6 Depth=2
	s_mul_u64 s[34:35], s[8:9], s[2:3]
	s_mov_b32 s54, 0
	s_lshl_b64 s[34:35], s[34:35], 2
	s_mov_b64 s[44:45], s[30:31]
	s_add_nc_u64 s[34:35], s[10:11], s[34:35]
	s_branch .LBB1_9
.LBB1_8:                                ;   in Loop: Header=BB1_9 Depth=3
	s_add_co_i32 s54, s54, 1
	s_add_nc_u64 s[44:45], s[44:45], s[16:17]
	s_cmp_eq_u32 s54, s41
	s_cbranch_scc1 .LBB1_5
.LBB1_9:                                ;   Parent Loop BB1_3 Depth=1
                                        ;     Parent Loop BB1_6 Depth=2
                                        ; =>    This Loop Header: Depth=3
                                        ;         Child Loop BB1_12 Depth 4
	s_and_not1_b32 vcc_lo, exec_lo, s60
	s_cbranch_vccnz .LBB1_8
; %bb.10:                               ;   in Loop: Header=BB1_9 Depth=3
	v_mad_u32 v2, s54, s37, v1
	s_mov_b64 s[46:47], s[44:45]
	s_mov_b32 s63, s42
	s_delay_alu instid0(VALU_DEP_1)
	v_mul_u64_e32 v[10:11], s[6:7], v[2:3]
	v_cmp_gt_i32_e32 vcc_lo, 0, v2
	v_cmp_le_i32_e64 s0, s20, v2
	v_mov_b32_e32 v2, v7
	s_or_b32 s55, vcc_lo, s0
	v_lshl_add_u64 v[10:11], v[10:11], 2, s[34:35]
	s_branch .LBB1_12
.LBB1_11:                               ;   in Loop: Header=BB1_12 Depth=4
	s_or_b32 exec_lo, exec_lo, s0
	v_add_nc_u32_e32 v2, s38, v2
	s_add_co_i32 s63, s63, -1
	s_add_nc_u64 s[46:47], s[46:47], s[14:15]
	s_cmp_eq_u32 s63, 0
	s_cbranch_scc1 .LBB1_8
.LBB1_12:                               ;   Parent Loop BB1_3 Depth=1
                                        ;     Parent Loop BB1_6 Depth=2
                                        ;       Parent Loop BB1_9 Depth=3
                                        ; =>      This Inner Loop Header: Depth=4
	s_delay_alu instid0(VALU_DEP_2) | instskip(SKIP_2) | instid1(SALU_CYCLE_1)
	v_cmp_gt_i32_e32 vcc_lo, 0, v2
	v_cmp_le_i32_e64 s0, s21, v2
	s_or_b32 s0, vcc_lo, s0
	s_nor_b32 s64, s55, s0
	s_delay_alu instid0(SALU_CYCLE_1)
	s_and_saveexec_b32 s0, s64
	s_cbranch_execz .LBB1_11
; %bb.13:                               ;   in Loop: Header=BB1_12 Depth=4
	v_mul_u64_e32 v[12:13], s[4:5], v[2:3]
	s_load_b32 s64, s[46:47], 0x0
	s_wait_kmcnt 0x0
	v_cvt_f64_f32_e32 v[14:15], s64
	s_delay_alu instid0(VALU_DEP_2) | instskip(SKIP_4) | instid1(VALU_DEP_1)
	v_lshl_add_u64 v[12:13], v[12:13], 2, v[10:11]
	global_load_b32 v9, v[12:13], off
	s_wait_loadcnt 0x0
	s_wait_xcnt 0x0
	v_cvt_f64_f32_e32 v[12:13], v9
	v_fmac_f64_e32 v[4:5], v[12:13], v[14:15]
	s_branch .LBB1_11
.LBB1_14:                               ;   in Loop: Header=BB1_3 Depth=1
	v_mov_b64_e32 v[4:5], 0
.LBB1_15:                               ;   in Loop: Header=BB1_3 Depth=1
	s_delay_alu instid0(VALU_DEP_2) | instskip(SKIP_1) | instid1(VALU_DEP_1)
	v_dual_ashrrev_i32 v7, 31, v6 :: v_dual_ashrrev_i32 v9, 31, v8
	s_and_not1_b32 vcc_lo, exec_lo, s52
	v_mul_u64_e32 v[6:7], s[58:59], v[6:7]
	s_delay_alu instid0(VALU_DEP_2) | instskip(NEXT) | instid1(VALU_DEP_2)
	v_mul_u64_e32 v[8:9], s[56:57], v[8:9]
	v_lshl_add_u64 v[6:7], v[6:7], 2, s[12:13]
	s_delay_alu instid0(VALU_DEP_1)
	v_lshl_add_u64 v[6:7], v[8:9], 2, v[6:7]
	s_cbranch_vccnz .LBB1_2
; %bb.16:                               ;   in Loop: Header=BB1_3 Depth=1
	global_load_b32 v1, v[6:7], off
	s_wait_loadcnt 0x0
	v_cvt_f64_f32_e32 v[8:9], v1
	s_delay_alu instid0(VALU_DEP_1) | instskip(NEXT) | instid1(VALU_DEP_1)
	v_mul_f64_e32 v[8:9], s[50:51], v[8:9]
	v_fmac_f64_e32 v[8:9], s[48:49], v[4:5]
	s_delay_alu instid0(VALU_DEP_1)
	v_mov_b64_e32 v[4:5], v[8:9]
	s_branch .LBB1_2
.LBB1_17:
	s_endpgm
	.section	.rodata,"a",@progbits
	.p2align	6, 0x0
	.amdhsa_kernel naive_conv_ab_nonpacked_fwd_nchw_float_double_float
		.amdhsa_group_segment_fixed_size 0
		.amdhsa_private_segment_fixed_size 0
		.amdhsa_kernarg_size 480
		.amdhsa_user_sgpr_count 2
		.amdhsa_user_sgpr_dispatch_ptr 0
		.amdhsa_user_sgpr_queue_ptr 0
		.amdhsa_user_sgpr_kernarg_segment_ptr 1
		.amdhsa_user_sgpr_dispatch_id 0
		.amdhsa_user_sgpr_kernarg_preload_length 0
		.amdhsa_user_sgpr_kernarg_preload_offset 0
		.amdhsa_user_sgpr_private_segment_size 0
		.amdhsa_wavefront_size32 1
		.amdhsa_uses_dynamic_stack 0
		.amdhsa_enable_private_segment 0
		.amdhsa_system_sgpr_workgroup_id_x 1
		.amdhsa_system_sgpr_workgroup_id_y 0
		.amdhsa_system_sgpr_workgroup_id_z 0
		.amdhsa_system_sgpr_workgroup_info 0
		.amdhsa_system_vgpr_workitem_id 0
		.amdhsa_next_free_vgpr 16
		.amdhsa_next_free_sgpr 69
		.amdhsa_named_barrier_count 0
		.amdhsa_reserve_vcc 1
		.amdhsa_float_round_mode_32 0
		.amdhsa_float_round_mode_16_64 0
		.amdhsa_float_denorm_mode_32 3
		.amdhsa_float_denorm_mode_16_64 3
		.amdhsa_fp16_overflow 0
		.amdhsa_memory_ordered 1
		.amdhsa_forward_progress 1
		.amdhsa_inst_pref_size 11
		.amdhsa_round_robin_scheduling 0
		.amdhsa_exception_fp_ieee_invalid_op 0
		.amdhsa_exception_fp_denorm_src 0
		.amdhsa_exception_fp_ieee_div_zero 0
		.amdhsa_exception_fp_ieee_overflow 0
		.amdhsa_exception_fp_ieee_underflow 0
		.amdhsa_exception_fp_ieee_inexact 0
		.amdhsa_exception_int_div_zero 0
	.end_amdhsa_kernel
	.text
.Lfunc_end1:
	.size	naive_conv_ab_nonpacked_fwd_nchw_float_double_float, .Lfunc_end1-naive_conv_ab_nonpacked_fwd_nchw_float_double_float
                                        ; -- End function
	.set naive_conv_ab_nonpacked_fwd_nchw_float_double_float.num_vgpr, 16
	.set naive_conv_ab_nonpacked_fwd_nchw_float_double_float.num_agpr, 0
	.set naive_conv_ab_nonpacked_fwd_nchw_float_double_float.numbered_sgpr, 69
	.set naive_conv_ab_nonpacked_fwd_nchw_float_double_float.num_named_barrier, 0
	.set naive_conv_ab_nonpacked_fwd_nchw_float_double_float.private_seg_size, 0
	.set naive_conv_ab_nonpacked_fwd_nchw_float_double_float.uses_vcc, 1
	.set naive_conv_ab_nonpacked_fwd_nchw_float_double_float.uses_flat_scratch, 0
	.set naive_conv_ab_nonpacked_fwd_nchw_float_double_float.has_dyn_sized_stack, 0
	.set naive_conv_ab_nonpacked_fwd_nchw_float_double_float.has_recursion, 0
	.set naive_conv_ab_nonpacked_fwd_nchw_float_double_float.has_indirect_call, 0
	.section	.AMDGPU.csdata,"",@progbits
; Kernel info:
; codeLenInByte = 1320
; TotalNumSgprs: 71
; NumVgprs: 16
; ScratchSize: 0
; MemoryBound: 0
; FloatMode: 240
; IeeeMode: 1
; LDSByteSize: 0 bytes/workgroup (compile time only)
; SGPRBlocks: 0
; VGPRBlocks: 0
; NumSGPRsForWavesPerEU: 71
; NumVGPRsForWavesPerEU: 16
; NamedBarCnt: 0
; Occupancy: 16
; WaveLimiterHint : 0
; COMPUTE_PGM_RSRC2:SCRATCH_EN: 0
; COMPUTE_PGM_RSRC2:USER_SGPR: 2
; COMPUTE_PGM_RSRC2:TRAP_HANDLER: 0
; COMPUTE_PGM_RSRC2:TGID_X_EN: 1
; COMPUTE_PGM_RSRC2:TGID_Y_EN: 0
; COMPUTE_PGM_RSRC2:TGID_Z_EN: 0
; COMPUTE_PGM_RSRC2:TIDIG_COMP_CNT: 0
	.text
	.protected	naive_conv_ab_packed_fwd_nchw_half_double_half ; -- Begin function naive_conv_ab_packed_fwd_nchw_half_double_half
	.globl	naive_conv_ab_packed_fwd_nchw_half_double_half
	.p2align	8
	.type	naive_conv_ab_packed_fwd_nchw_half_double_half,@function
naive_conv_ab_packed_fwd_nchw_half_double_half: ; @naive_conv_ab_packed_fwd_nchw_half_double_half
; %bb.0:
	s_load_b512 s[4:19], s[0:1], 0xa0
	s_bfe_u32 s2, ttmp6, 0x4000c
	s_and_b32 s3, ttmp6, 15
	s_add_co_i32 s2, s2, 1
	s_getreg_b32 s20, hwreg(HW_REG_IB_STS2, 6, 4)
	s_mul_i32 s2, ttmp9, s2
	s_mov_b32 s26, exec_lo
	s_add_co_i32 s3, s3, s2
	s_cmp_eq_u32 s20, 0
	s_cselect_b32 s20, ttmp9, s3
	s_wait_kmcnt 0x0
	s_abs_i32 s3, s7
	s_mul_i32 s33, s10, s9
	s_cvt_f32_u32 s2, s3
	s_delay_alu instid0(SALU_CYCLE_3) | instskip(SKIP_1) | instid1(TRANS32_DEP_1)
	v_rcp_iflag_f32_e32 v1, s2
	v_nop
	v_readfirstlane_b32 s2, v1
	s_mul_f32 s2, s2, 0x4f7ffffe
	s_delay_alu instid0(SALU_CYCLE_3) | instskip(SKIP_1) | instid1(SALU_CYCLE_2)
	s_cvt_u32_f32 s21, s2
	s_sub_co_i32 s2, 0, s3
	s_mul_i32 s2, s2, s21
	s_delay_alu instid0(SALU_CYCLE_1) | instskip(SKIP_2) | instid1(SALU_CYCLE_1)
	s_mul_hi_u32 s22, s21, s2
	s_abs_i32 s2, s20
	s_add_co_i32 s21, s21, s22
	s_mul_hi_u32 s21, s2, s21
	s_delay_alu instid0(SALU_CYCLE_1) | instskip(SKIP_2) | instid1(SALU_CYCLE_1)
	s_mul_i32 s22, s21, s3
	s_add_co_i32 s23, s21, 1
	s_sub_co_i32 s22, s2, s22
	s_sub_co_i32 s24, s22, s3
	s_cmp_ge_u32 s22, s3
	s_cselect_b32 s21, s23, s21
	s_cselect_b32 s22, s24, s22
	s_add_co_i32 s23, s21, 1
	s_cmp_ge_u32 s22, s3
	s_mul_i32 s22, s7, s6
	s_cselect_b32 s24, s23, s21
	s_abs_i32 s21, s6
	s_abs_i32 s6, s22
	s_cvt_f32_u32 s3, s21
	s_cvt_f32_u32 s23, s6
	s_delay_alu instid0(SALU_CYCLE_2) | instskip(NEXT) | instid1(SALU_CYCLE_2)
	v_rcp_iflag_f32_e32 v1, s3
	v_rcp_iflag_f32_e32 v2, s23
	s_mov_b32 s3, 0
	s_delay_alu instid0(TRANS32_DEP_2) | instskip(NEXT) | instid1(TRANS32_DEP_1)
	v_readfirstlane_b32 s25, v1
	v_readfirstlane_b32 s23, v2
	v_cmpx_gt_i32_e64 s33, v0
	s_cbranch_execz .LBB2_19
; %bb.1:
	s_ashr_i32 s28, s20, 31
	s_ashr_i32 s37, s7, 31
	s_mul_f32 s25, s25, 0x4f7ffffe
	s_xor_b32 s26, s28, s37
	s_mul_f32 s23, s23, 0x4f7ffffe
	s_xor_b32 s24, s24, s26
	s_cvt_u32_f32 s25, s25
	s_sub_co_i32 s29, s24, s26
	s_sub_co_i32 s24, 0, s21
	s_cvt_u32_f32 s23, s23
	s_mul_i32 s24, s24, s25
	s_sub_co_i32 s31, 0, s6
	s_mul_hi_u32 s26, s25, s24
	s_abs_i32 s24, s29
	s_add_co_i32 s26, s25, s26
	s_mov_b32 s25, s3
	s_mov_b32 s27, s3
	s_mul_i32 s31, s31, s23
	s_mul_u64 s[26:27], s[24:25], s[26:27]
	s_mul_hi_u32 s25, s23, s31
	s_ashr_i32 s26, s22, 31
	s_add_co_i32 s22, s23, s25
	s_mul_i32 s23, s27, s21
	s_ashr_i32 s30, s29, 31
	s_mul_i32 s29, s29, s7
	s_sub_co_i32 s23, s24, s23
	s_sub_co_i32 s38, s20, s29
	s_sub_co_i32 s20, s23, s21
	s_cmp_ge_u32 s23, s21
	s_mov_b32 s36, s7
	s_cselect_b32 s20, s20, s23
	s_mov_b32 s34, s5
	s_sub_co_i32 s23, s20, s21
	s_cmp_ge_u32 s20, s21
	v_mov_b32_e32 v3, 0
	s_cselect_b32 s20, s23, s20
	s_mov_b32 s23, s3
	s_xor_b32 s24, s20, s30
	s_mul_u64 s[20:21], s[2:3], s[22:23]
	s_sub_co_i32 s40, s24, s30
	s_mul_i32 s20, s21, s6
	s_xor_b32 s30, s28, s26
	s_sub_co_i32 s2, s2, s20
	s_add_co_i32 s20, s21, 1
	s_sub_co_i32 s22, s2, s6
	s_cmp_ge_u32 s2, s6
	s_cselect_b32 s28, s20, s21
	s_cselect_b32 s2, s22, s2
	s_load_b256 s[20:27], s[0:1], 0x0
	s_add_co_i32 s29, s28, 1
	s_cmp_ge_u32 s2, s6
	s_mul_i32 s6, s19, s7
	s_cselect_b32 s2, s29, s28
	s_mul_i32 s28, s19, s8
	s_xor_b32 s2, s2, s30
	s_ashr_i32 s41, s40, 31
	s_sub_co_i32 s42, s2, s30
	s_ashr_i32 s29, s28, 31
	s_ashr_i32 s43, s42, 31
	;; [unrolled: 1-line block ×3, first 2 shown]
	s_mov_b32 s30, s8
	s_mul_u64 s[36:37], s[42:43], s[36:37]
	s_ashr_i32 s39, s38, 31
	s_ashr_i32 s7, s6, 31
	s_mul_u64 s[44:45], s[40:41], s[28:29]
	s_ashr_i32 s29, s4, 31
	s_mov_b32 s28, s4
	s_ashr_i32 s35, s5, 31
	s_mul_u64 s[46:47], s[42:43], s[30:31]
	s_add_nc_u64 s[36:37], s[36:37], s[38:39]
	s_mul_u64 s[38:39], s[40:41], s[6:7]
	s_ashr_i32 s41, s9, 31
	s_mov_b32 s40, s9
	s_ashr_i32 s7, s10, 31
	s_mov_b32 s6, s10
	s_add_nc_u64 s[4:5], s[46:47], s[44:45]
	s_mul_u64 s[44:45], s[34:35], s[28:29]
	s_add_nc_u64 s[38:39], s[36:37], s[38:39]
	s_mul_u64 s[40:41], s[6:7], s[40:41]
	s_wait_kmcnt 0x0
	v_cmp_neq_f64_e64 s2, s[24:25], 1.0
	v_cmp_neq_f64_e64 s42, s[26:27], 0
	s_mul_u64 s[4:5], s[44:45], s[4:5]
	s_mul_u64 s[38:39], s[40:41], s[38:39]
	s_lshl_b64 s[44:45], s[4:5], 1
	s_ashr_i32 s5, s17, 31
	s_ashr_i32 s19, s18, 31
	s_lshl_b64 s[38:39], s[38:39], 1
	s_cmp_gt_i32 s8, 0
	s_load_b64 s[40:41], s[0:1], 0x20
	s_cselect_b32 s50, -1, 0
	s_cmp_gt_i32 s17, 0
	s_wait_xcnt 0x0
	s_load_b32 s0, s[0:1], 0xec
	s_cselect_b32 s51, -1, 0
	s_cmp_gt_i32 s18, 0
	s_add_nc_u64 s[8:9], s[20:21], s[44:45]
	s_cselect_b32 s52, -1, 0
	s_abs_i32 s10, s10
	s_delay_alu instid0(SALU_CYCLE_1) | instskip(NEXT) | instid1(SALU_CYCLE_3)
	s_cvt_f32_u32 s4, s10
	v_rcp_iflag_f32_e32 v1, s4
	s_mov_b32 s4, s17
	s_wait_kmcnt 0x0
	s_add_nc_u64 s[20:21], s[40:41], s[38:39]
	v_nop
	s_delay_alu instid0(TRANS32_DEP_1)
	v_readfirstlane_b32 s1, v1
	s_mul_u64 s[38:39], s[18:19], s[4:5]
	s_and_b32 s17, s0, 0xffff
	s_sub_co_i32 s0, 0, s10
	s_mul_u64 s[36:37], s[38:39], s[36:37]
	s_mul_f32 s43, s1, 0x4f7ffffe
	s_or_b32 s1, s2, s42
	s_mul_u64 s[40:41], s[36:37], s[30:31]
	v_mov_b32_e32 v1, 0x7e00
	s_cvt_u32_f32 s2, s43
	s_lshl_b64 s[40:41], s[40:41], 1
	s_mov_b32 s37, s3
	s_add_nc_u64 s[22:23], s[22:23], s[40:41]
	s_mul_i32 s0, s0, s2
	s_lshl_b64 s[38:39], s[38:39], 1
	s_mul_hi_u32 s0, s2, s0
	s_lshl_b64 s[40:41], s[18:19], 1
	s_add_co_i32 s36, s2, s0
	s_mov_b32 s5, 0
	s_branch .LBB2_3
.LBB2_2:                                ;   in Loop: Header=BB2_3 Depth=1
	v_add_nc_u32_e32 v0, s17, v0
	s_delay_alu instid0(VALU_DEP_1)
	v_cmp_le_i32_e32 vcc_lo, s33, v0
	s_or_b32 s5, vcc_lo, s5
	s_wait_xcnt 0x0
	s_and_not1_b32 exec_lo, exec_lo, s5
	s_cbranch_execz .LBB2_19
.LBB2_3:                                ; =>This Loop Header: Depth=1
                                        ;     Child Loop BB2_6 Depth 2
                                        ;       Child Loop BB2_9 Depth 3
                                        ;         Child Loop BB2_12 Depth 4
	v_sub_nc_u32_e32 v2, 0, v0
	s_delay_alu instid0(VALU_DEP_1) | instskip(NEXT) | instid1(VALU_DEP_1)
	v_max_i32_e32 v2, v0, v2
	v_mul_u64_e32 v[4:5], s[36:37], v[2:3]
	s_delay_alu instid0(VALU_DEP_1) | instskip(NEXT) | instid1(VALU_DEP_1)
	v_mul_lo_u32 v4, v5, s10
	v_dual_sub_nc_u32 v2, v2, v4 :: v_dual_add_nc_u32 v4, 1, v5
	s_delay_alu instid0(VALU_DEP_1) | instskip(SKIP_1) | instid1(VALU_DEP_3)
	v_subrev_nc_u32_e32 v6, s10, v2
	v_cmp_le_u32_e32 vcc_lo, s10, v2
	v_cndmask_b32_e32 v4, v5, v4, vcc_lo
	s_delay_alu instid0(VALU_DEP_3) | instskip(NEXT) | instid1(VALU_DEP_2)
	v_dual_cndmask_b32 v2, v2, v6 :: v_dual_ashrrev_i32 v5, 31, v0
	v_add_nc_u32_e32 v6, 1, v4
	s_delay_alu instid0(VALU_DEP_2) | instskip(NEXT) | instid1(VALU_DEP_2)
	v_cmp_le_u32_e32 vcc_lo, s10, v2
	v_dual_cndmask_b32 v2, v4, v6, vcc_lo :: v_dual_bitop2_b32 v5, s7, v5 bitop3:0x14
	s_and_not1_b32 vcc_lo, exec_lo, s50
	s_delay_alu instid0(VALU_DEP_1) | instskip(NEXT) | instid1(VALU_DEP_1)
	v_xor_b32_e32 v2, v2, v5
	v_sub_nc_u32_e32 v10, v2, v5
	s_delay_alu instid0(VALU_DEP_1) | instskip(NEXT) | instid1(VALU_DEP_1)
	v_mul_lo_u32 v2, v10, s6
	v_sub_nc_u32_e32 v6, v0, v2
	s_cbranch_vccnz .LBB2_14
; %bb.4:                                ;   in Loop: Header=BB2_3 Depth=1
	v_mul_lo_u32 v2, v10, s11
	s_delay_alu instid0(VALU_DEP_2) | instskip(SKIP_3) | instid1(VALU_DEP_3)
	v_mul_lo_u32 v8, v6, s12
	v_mov_b64_e32 v[4:5], 0
	s_mov_b32 s2, 0
	s_mov_b64 s[42:43], s[22:23]
	v_subrev_nc_u32_e32 v7, s15, v2
	s_delay_alu instid0(VALU_DEP_3)
	v_subrev_nc_u32_e32 v11, s16, v8
	s_branch .LBB2_6
.LBB2_5:                                ;   in Loop: Header=BB2_6 Depth=2
	s_add_co_i32 s2, s2, 1
	s_add_nc_u64 s[42:43], s[42:43], s[38:39]
	s_cmp_eq_u32 s2, s30
	s_cbranch_scc1 .LBB2_15
.LBB2_6:                                ;   Parent Loop BB2_3 Depth=1
                                        ; =>  This Loop Header: Depth=2
                                        ;       Child Loop BB2_9 Depth 3
                                        ;         Child Loop BB2_12 Depth 4
	s_and_not1_b32 vcc_lo, exec_lo, s51
	s_cbranch_vccnz .LBB2_5
; %bb.7:                                ;   in Loop: Header=BB2_6 Depth=2
	s_mul_u64 s[44:45], s[2:3], s[28:29]
	s_mov_b32 s19, 0
	s_mov_b64 s[46:47], s[42:43]
	s_branch .LBB2_9
.LBB2_8:                                ;   in Loop: Header=BB2_9 Depth=3
	s_add_co_i32 s19, s19, 1
	s_add_nc_u64 s[46:47], s[46:47], s[40:41]
	s_cmp_eq_u32 s19, s4
	s_cbranch_scc1 .LBB2_5
.LBB2_9:                                ;   Parent Loop BB2_3 Depth=1
                                        ;     Parent Loop BB2_6 Depth=2
                                        ; =>    This Loop Header: Depth=3
                                        ;         Child Loop BB2_12 Depth 4
	s_and_not1_b32 vcc_lo, exec_lo, s52
	s_cbranch_vccnz .LBB2_8
; %bb.10:                               ;   in Loop: Header=BB2_9 Depth=3
	v_mad_u32 v2, s19, s13, v7
	s_mov_b64 s[48:49], s[46:47]
	s_mov_b32 s53, s18
	s_delay_alu instid0(VALU_DEP_1)
	v_add_nc_u64_e32 v[8:9], s[44:45], v[2:3]
	v_cmp_gt_i32_e32 vcc_lo, 0, v2
	v_cmp_le_i32_e64 s0, s28, v2
	v_mov_b32_e32 v2, v11
	s_or_b32 s31, vcc_lo, s0
	v_mul_u64_e32 v[8:9], s[34:35], v[8:9]
	s_delay_alu instid0(VALU_DEP_1)
	v_lshl_add_u64 v[8:9], v[8:9], 1, s[8:9]
	s_branch .LBB2_12
.LBB2_11:                               ;   in Loop: Header=BB2_12 Depth=4
	s_wait_xcnt 0x0
	s_or_b32 exec_lo, exec_lo, s0
	v_add_nc_u32_e32 v2, s14, v2
	s_add_co_i32 s53, s53, -1
	s_add_nc_u64 s[48:49], s[48:49], 2
	s_cmp_eq_u32 s53, 0
	s_cbranch_scc1 .LBB2_8
.LBB2_12:                               ;   Parent Loop BB2_3 Depth=1
                                        ;     Parent Loop BB2_6 Depth=2
                                        ;       Parent Loop BB2_9 Depth=3
                                        ; =>      This Inner Loop Header: Depth=4
	v_cmp_gt_i32_e32 vcc_lo, 0, v2
	v_cmp_le_i32_e64 s0, s34, v2
	s_or_b32 s0, vcc_lo, s0
	s_delay_alu instid0(SALU_CYCLE_1) | instskip(NEXT) | instid1(SALU_CYCLE_1)
	s_nor_b32 s54, s31, s0
	s_and_saveexec_b32 s0, s54
	s_cbranch_execz .LBB2_11
; %bb.13:                               ;   in Loop: Header=BB2_12 Depth=4
	v_lshl_add_u64 v[12:13], v[2:3], 1, v[8:9]
	global_load_u16 v12, v[12:13], off
	global_load_u16 v13, v3, s[48:49]
	s_wait_loadcnt 0x1
	v_cvt_f32_f16_e32 v12, v12
	s_wait_loadcnt 0x0
	v_cvt_f32_f16_e32 v14, v13
	s_delay_alu instid0(VALU_DEP_2) | instskip(NEXT) | instid1(VALU_DEP_2)
	v_cvt_f64_f32_e32 v[12:13], v12
	v_cvt_f64_f32_e32 v[14:15], v14
	s_delay_alu instid0(VALU_DEP_1)
	v_fmac_f64_e32 v[4:5], v[12:13], v[14:15]
	s_branch .LBB2_11
.LBB2_14:                               ;   in Loop: Header=BB2_3 Depth=1
	v_mov_b64_e32 v[4:5], 0
.LBB2_15:                               ;   in Loop: Header=BB2_3 Depth=1
	s_delay_alu instid0(VALU_DEP_2) | instskip(SKIP_2) | instid1(VALU_DEP_1)
	v_ashrrev_i32_e32 v7, 31, v6
	s_and_b32 vcc_lo, exec_lo, s1
	s_mov_b32 s0, -1
	v_mad_nc_i64_i32 v[6:7], v10, s6, v[6:7]
	s_cbranch_vccz .LBB2_17
; %bb.16:                               ;   in Loop: Header=BB2_3 Depth=1
	s_delay_alu instid0(VALU_DEP_1) | instskip(SKIP_4) | instid1(VALU_DEP_1)
	v_lshl_add_u64 v[8:9], v[6:7], 1, s[20:21]
	s_mov_b32 s0, 0
	global_load_u16 v2, v[8:9], off
	s_wait_loadcnt 0x0
	v_cvt_f32_f16_e32 v2, v2
	v_cvt_f64_f32_e32 v[10:11], v2
	s_delay_alu instid0(VALU_DEP_1) | instskip(NEXT) | instid1(VALU_DEP_1)
	v_mul_f64_e32 v[10:11], s[26:27], v[10:11]
	v_fmac_f64_e32 v[10:11], s[24:25], v[4:5]
	s_delay_alu instid0(VALU_DEP_1) | instskip(SKIP_2) | instid1(VALU_DEP_3)
	v_and_or_b32 v2, 0x1ff, v11, v10
	v_lshrrev_b32_e32 v10, 8, v11
	v_bfe_u32 v12, v11, 20, 11
	v_cmp_ne_u32_e32 vcc_lo, 0, v2
	s_delay_alu instid0(VALU_DEP_2) | instskip(SKIP_2) | instid1(VALU_DEP_1)
	v_sub_nc_u32_e32 v13, 0x3f1, v12
	v_add_nc_u32_e32 v12, 0xfffffc10, v12
	v_cndmask_b32_e64 v2, 0, 1, vcc_lo
	v_and_or_b32 v2, 0xffe, v10, v2
	s_delay_alu instid0(VALU_DEP_4) | instskip(NEXT) | instid1(VALU_DEP_2)
	v_med3_i32 v10, v13, 0, 13
	v_or_b32_e32 v13, 0x1000, v2
	s_delay_alu instid0(VALU_DEP_1) | instskip(NEXT) | instid1(VALU_DEP_1)
	v_lshrrev_b32_e32 v14, v10, v13
	v_lshlrev_b32_e32 v10, v10, v14
	s_delay_alu instid0(VALU_DEP_1) | instskip(SKIP_3) | instid1(VALU_DEP_2)
	v_cmp_ne_u32_e32 vcc_lo, v10, v13
	v_lshl_or_b32 v13, v12, 12, v2
	v_cndmask_b32_e64 v10, 0, 1, vcc_lo
	v_cmp_gt_i32_e32 vcc_lo, 1, v12
	v_or_b32_e32 v10, v14, v10
	s_delay_alu instid0(VALU_DEP_1) | instskip(NEXT) | instid1(VALU_DEP_1)
	v_cndmask_b32_e32 v10, v13, v10, vcc_lo
	v_dual_lshrrev_b32 v10, 2, v10 :: v_dual_bitop2_b32 v13, 7, v10 bitop3:0x40
	s_delay_alu instid0(VALU_DEP_1) | instskip(SKIP_4) | instid1(VALU_DEP_2)
	v_cmp_lt_i32_e32 vcc_lo, 5, v13
	v_cndmask_b32_e64 v14, 0, 1, vcc_lo
	v_cmp_eq_u32_e32 vcc_lo, 3, v13
	v_cndmask_b32_e64 v13, 0, 1, vcc_lo
	v_cmp_ne_u32_e32 vcc_lo, 0, v2
	v_or_b32_e32 v13, v13, v14
	v_cndmask_b32_e32 v2, 0x7c00, v1, vcc_lo
	v_cmp_gt_i32_e32 vcc_lo, 31, v12
	s_delay_alu instid0(VALU_DEP_3) | instskip(NEXT) | instid1(VALU_DEP_1)
	v_add_nc_u32_e32 v10, v10, v13
	v_cndmask_b32_e32 v10, 0x7c00, v10, vcc_lo
	v_cmp_eq_u32_e32 vcc_lo, 0x40f, v12
	s_delay_alu instid0(VALU_DEP_2) | instskip(NEXT) | instid1(VALU_DEP_1)
	v_dual_cndmask_b32 v2, v10, v2, vcc_lo :: v_dual_lshrrev_b32 v10, 16, v11
	v_and_or_b32 v2, 0x8000, v10, v2
	global_store_b16 v[8:9], v2, off
.LBB2_17:                               ;   in Loop: Header=BB2_3 Depth=1
	s_and_not1_b32 vcc_lo, exec_lo, s0
	s_cbranch_vccnz .LBB2_2
; %bb.18:                               ;   in Loop: Header=BB2_3 Depth=1
	s_wait_xcnt 0x0
	s_delay_alu instid0(VALU_DEP_3) | instskip(SKIP_3) | instid1(VALU_DEP_4)
	v_and_or_b32 v2, 0x1ff, v5, v4
	v_lshrrev_b32_e32 v4, 8, v5
	v_bfe_u32 v8, v5, 20, 11
	v_lshrrev_b32_e32 v5, 16, v5
	v_cmp_ne_u32_e32 vcc_lo, 0, v2
	s_delay_alu instid0(VALU_DEP_3) | instskip(SKIP_2) | instid1(VALU_DEP_1)
	v_sub_nc_u32_e32 v9, 0x3f1, v8
	v_add_nc_u32_e32 v8, 0xfffffc10, v8
	v_cndmask_b32_e64 v2, 0, 1, vcc_lo
	v_and_or_b32 v2, 0xffe, v4, v2
	s_delay_alu instid0(VALU_DEP_4) | instskip(NEXT) | instid1(VALU_DEP_2)
	v_med3_i32 v4, v9, 0, 13
	v_or_b32_e32 v9, 0x1000, v2
	s_delay_alu instid0(VALU_DEP_1) | instskip(NEXT) | instid1(VALU_DEP_1)
	v_lshrrev_b32_e32 v10, v4, v9
	v_lshlrev_b32_e32 v4, v4, v10
	s_delay_alu instid0(VALU_DEP_1) | instskip(SKIP_3) | instid1(VALU_DEP_2)
	v_cmp_ne_u32_e32 vcc_lo, v4, v9
	v_lshl_or_b32 v9, v8, 12, v2
	v_cndmask_b32_e64 v4, 0, 1, vcc_lo
	v_cmp_gt_i32_e32 vcc_lo, 1, v8
	v_or_b32_e32 v4, v10, v4
	s_delay_alu instid0(VALU_DEP_1) | instskip(NEXT) | instid1(VALU_DEP_1)
	v_cndmask_b32_e32 v4, v9, v4, vcc_lo
	v_dual_lshrrev_b32 v4, 2, v4 :: v_dual_bitop2_b32 v9, 7, v4 bitop3:0x40
	s_delay_alu instid0(VALU_DEP_1) | instskip(SKIP_4) | instid1(VALU_DEP_2)
	v_cmp_lt_i32_e32 vcc_lo, 5, v9
	v_cndmask_b32_e64 v10, 0, 1, vcc_lo
	v_cmp_eq_u32_e32 vcc_lo, 3, v9
	v_cndmask_b32_e64 v9, 0, 1, vcc_lo
	v_cmp_ne_u32_e32 vcc_lo, 0, v2
	v_or_b32_e32 v9, v9, v10
	v_cndmask_b32_e32 v2, 0x7c00, v1, vcc_lo
	v_cmp_gt_i32_e32 vcc_lo, 31, v8
	s_delay_alu instid0(VALU_DEP_3) | instskip(NEXT) | instid1(VALU_DEP_1)
	v_add_nc_u32_e32 v4, v4, v9
	v_cndmask_b32_e32 v4, 0x7c00, v4, vcc_lo
	v_cmp_eq_u32_e32 vcc_lo, 0x40f, v8
	s_delay_alu instid0(VALU_DEP_2) | instskip(NEXT) | instid1(VALU_DEP_1)
	v_cndmask_b32_e32 v2, v4, v2, vcc_lo
	v_and_or_b32 v2, 0x8000, v5, v2
	v_lshl_add_u64 v[4:5], v[6:7], 1, s[20:21]
	global_store_b16 v[4:5], v2, off
	s_branch .LBB2_2
.LBB2_19:
	s_endpgm
	.section	.rodata,"a",@progbits
	.p2align	6, 0x0
	.amdhsa_kernel naive_conv_ab_packed_fwd_nchw_half_double_half
		.amdhsa_group_segment_fixed_size 0
		.amdhsa_private_segment_fixed_size 0
		.amdhsa_kernarg_size 480
		.amdhsa_user_sgpr_count 2
		.amdhsa_user_sgpr_dispatch_ptr 0
		.amdhsa_user_sgpr_queue_ptr 0
		.amdhsa_user_sgpr_kernarg_segment_ptr 1
		.amdhsa_user_sgpr_dispatch_id 0
		.amdhsa_user_sgpr_kernarg_preload_length 0
		.amdhsa_user_sgpr_kernarg_preload_offset 0
		.amdhsa_user_sgpr_private_segment_size 0
		.amdhsa_wavefront_size32 1
		.amdhsa_uses_dynamic_stack 0
		.amdhsa_enable_private_segment 0
		.amdhsa_system_sgpr_workgroup_id_x 1
		.amdhsa_system_sgpr_workgroup_id_y 0
		.amdhsa_system_sgpr_workgroup_id_z 0
		.amdhsa_system_sgpr_workgroup_info 0
		.amdhsa_system_vgpr_workitem_id 0
		.amdhsa_next_free_vgpr 16
		.amdhsa_next_free_sgpr 55
		.amdhsa_named_barrier_count 0
		.amdhsa_reserve_vcc 1
		.amdhsa_float_round_mode_32 0
		.amdhsa_float_round_mode_16_64 0
		.amdhsa_float_denorm_mode_32 3
		.amdhsa_float_denorm_mode_16_64 3
		.amdhsa_fp16_overflow 0
		.amdhsa_memory_ordered 1
		.amdhsa_forward_progress 1
		.amdhsa_inst_pref_size 15
		.amdhsa_round_robin_scheduling 0
		.amdhsa_exception_fp_ieee_invalid_op 0
		.amdhsa_exception_fp_denorm_src 0
		.amdhsa_exception_fp_ieee_div_zero 0
		.amdhsa_exception_fp_ieee_overflow 0
		.amdhsa_exception_fp_ieee_underflow 0
		.amdhsa_exception_fp_ieee_inexact 0
		.amdhsa_exception_int_div_zero 0
	.end_amdhsa_kernel
	.text
.Lfunc_end2:
	.size	naive_conv_ab_packed_fwd_nchw_half_double_half, .Lfunc_end2-naive_conv_ab_packed_fwd_nchw_half_double_half
                                        ; -- End function
	.set naive_conv_ab_packed_fwd_nchw_half_double_half.num_vgpr, 16
	.set naive_conv_ab_packed_fwd_nchw_half_double_half.num_agpr, 0
	.set naive_conv_ab_packed_fwd_nchw_half_double_half.numbered_sgpr, 55
	.set naive_conv_ab_packed_fwd_nchw_half_double_half.num_named_barrier, 0
	.set naive_conv_ab_packed_fwd_nchw_half_double_half.private_seg_size, 0
	.set naive_conv_ab_packed_fwd_nchw_half_double_half.uses_vcc, 1
	.set naive_conv_ab_packed_fwd_nchw_half_double_half.uses_flat_scratch, 0
	.set naive_conv_ab_packed_fwd_nchw_half_double_half.has_dyn_sized_stack, 0
	.set naive_conv_ab_packed_fwd_nchw_half_double_half.has_recursion, 0
	.set naive_conv_ab_packed_fwd_nchw_half_double_half.has_indirect_call, 0
	.section	.AMDGPU.csdata,"",@progbits
; Kernel info:
; codeLenInByte = 1884
; TotalNumSgprs: 57
; NumVgprs: 16
; ScratchSize: 0
; MemoryBound: 0
; FloatMode: 240
; IeeeMode: 1
; LDSByteSize: 0 bytes/workgroup (compile time only)
; SGPRBlocks: 0
; VGPRBlocks: 0
; NumSGPRsForWavesPerEU: 57
; NumVGPRsForWavesPerEU: 16
; NamedBarCnt: 0
; Occupancy: 16
; WaveLimiterHint : 0
; COMPUTE_PGM_RSRC2:SCRATCH_EN: 0
; COMPUTE_PGM_RSRC2:USER_SGPR: 2
; COMPUTE_PGM_RSRC2:TRAP_HANDLER: 0
; COMPUTE_PGM_RSRC2:TGID_X_EN: 1
; COMPUTE_PGM_RSRC2:TGID_Y_EN: 0
; COMPUTE_PGM_RSRC2:TGID_Z_EN: 0
; COMPUTE_PGM_RSRC2:TIDIG_COMP_CNT: 0
	.text
	.protected	naive_conv_ab_nonpacked_fwd_nchw_half_double_half ; -- Begin function naive_conv_ab_nonpacked_fwd_nchw_half_double_half
	.globl	naive_conv_ab_nonpacked_fwd_nchw_half_double_half
	.p2align	8
	.type	naive_conv_ab_nonpacked_fwd_nchw_half_double_half,@function
naive_conv_ab_nonpacked_fwd_nchw_half_double_half: ; @naive_conv_ab_nonpacked_fwd_nchw_half_double_half
; %bb.0:
	s_load_b256 s[20:27], s[0:1], 0xa0
	s_bfe_u32 s2, ttmp6, 0x4000c
	s_and_b32 s3, ttmp6, 15
	s_add_co_i32 s2, s2, 1
	s_getreg_b32 s4, hwreg(HW_REG_IB_STS2, 6, 4)
	s_mul_i32 s2, ttmp9, s2
	s_mov_b32 s10, exec_lo
	s_add_co_i32 s3, s3, s2
	s_cmp_eq_u32 s4, 0
	s_cselect_b32 s4, ttmp9, s3
	s_wait_kmcnt 0x0
	s_abs_i32 s3, s23
	s_mul_i32 s25, s26, s25
	s_cvt_f32_u32 s2, s3
	s_delay_alu instid0(SALU_CYCLE_3) | instskip(SKIP_1) | instid1(TRANS32_DEP_1)
	v_rcp_iflag_f32_e32 v1, s2
	v_nop
	v_readfirstlane_b32 s2, v1
	s_mul_f32 s2, s2, 0x4f7ffffe
	s_delay_alu instid0(SALU_CYCLE_3) | instskip(SKIP_1) | instid1(SALU_CYCLE_2)
	s_cvt_u32_f32 s5, s2
	s_sub_co_i32 s2, 0, s3
	s_mul_i32 s2, s2, s5
	s_delay_alu instid0(SALU_CYCLE_1) | instskip(SKIP_2) | instid1(SALU_CYCLE_1)
	s_mul_hi_u32 s6, s5, s2
	s_abs_i32 s2, s4
	s_add_co_i32 s5, s5, s6
	s_mul_hi_u32 s5, s2, s5
	s_delay_alu instid0(SALU_CYCLE_1) | instskip(SKIP_2) | instid1(SALU_CYCLE_1)
	s_mul_i32 s6, s5, s3
	s_add_co_i32 s7, s5, 1
	s_sub_co_i32 s6, s2, s6
	s_sub_co_i32 s8, s6, s3
	s_cmp_ge_u32 s6, s3
	s_cselect_b32 s5, s7, s5
	s_cselect_b32 s6, s8, s6
	s_add_co_i32 s7, s5, 1
	s_cmp_ge_u32 s6, s3
	s_mul_i32 s6, s23, s22
	s_cselect_b32 s8, s7, s5
	s_abs_i32 s5, s22
	s_abs_i32 s22, s6
	s_cvt_f32_u32 s3, s5
	s_cvt_f32_u32 s7, s22
	s_delay_alu instid0(SALU_CYCLE_2) | instskip(NEXT) | instid1(SALU_CYCLE_2)
	v_rcp_iflag_f32_e32 v1, s3
	v_rcp_iflag_f32_e32 v2, s7
	s_mov_b32 s3, 0
	s_delay_alu instid0(TRANS32_DEP_2) | instskip(NEXT) | instid1(TRANS32_DEP_1)
	v_readfirstlane_b32 s9, v1
	v_readfirstlane_b32 s7, v2
	v_cmpx_gt_i32_e64 s25, v0
	s_cbranch_execz .LBB3_19
; %bb.1:
	s_ashr_i32 s33, s4, 31
	s_ashr_i32 s10, s23, 31
	s_mul_f32 s9, s9, 0x4f7ffffe
	s_xor_b32 s10, s33, s10
	s_mul_f32 s7, s7, 0x4f7ffffe
	s_xor_b32 s8, s8, s10
	s_cvt_u32_f32 s9, s9
	s_sub_co_i32 s12, s8, s10
	s_sub_co_i32 s8, 0, s5
	s_cvt_u32_f32 s7, s7
	s_mul_i32 s8, s8, s9
	s_sub_co_i32 s13, 0, s22
	s_mul_hi_u32 s10, s9, s8
	s_abs_i32 s8, s12
	s_add_co_i32 s10, s9, s10
	s_mov_b32 s9, s3
	s_mov_b32 s11, s3
	s_mul_i32 s13, s13, s7
	s_mul_u64 s[10:11], s[8:9], s[10:11]
	s_mul_hi_u32 s9, s7, s13
	s_ashr_i32 s38, s6, 31
	s_add_co_i32 s6, s7, s9
	s_mul_i32 s7, s11, s5
	s_ashr_i32 s35, s12, 31
	s_mul_i32 s12, s12, s23
	s_sub_co_i32 s7, s8, s7
	s_sub_co_i32 s34, s4, s12
	;; [unrolled: 1-line block ×3, first 2 shown]
	s_cmp_ge_u32 s7, s5
	s_clause 0x1
	s_load_b64 s[52:53], s[0:1], 0x98
	s_load_b128 s[28:31], s[0:1], 0x88
	s_cselect_b32 s4, s4, s7
	s_mov_b32 s7, s3
	s_sub_co_i32 s8, s4, s5
	s_cmp_ge_u32 s4, s5
	s_mul_u64 s[36:37], s[2:3], s[6:7]
	s_cselect_b32 s23, s8, s4
	s_load_b512 s[4:19], s[0:1], 0x28
	s_xor_b32 s23, s23, s35
	s_xor_b32 s33, s33, s38
	s_sub_co_i32 s54, s23, s35
	s_mul_i32 s23, s37, s22
	s_load_b256 s[44:51], s[0:1], 0xc0
	s_sub_co_i32 s2, s2, s23
	s_add_co_i32 s23, s37, 1
	s_sub_co_i32 s35, s2, s22
	s_cmp_ge_u32 s2, s22
	s_load_b64 s[64:65], s[0:1], 0x20
	s_cselect_b32 s23, s23, s37
	s_load_b256 s[36:43], s[0:1], 0x0
	s_cselect_b32 s2, s35, s2
	s_add_co_i32 s35, s23, 1
	s_cmp_ge_u32 s2, s22
	s_load_b32 s67, s[0:1], 0xec
	s_cselect_b32 s2, s35, s23
	s_ashr_i32 s55, s54, 31
	s_xor_b32 s2, s2, s33
	s_ashr_i32 s35, s34, 31
	s_sub_co_i32 s22, s2, s33
	s_wait_kmcnt 0x0
	s_mul_u64 s[12:13], s[12:13], s[54:55]
	s_ashr_i32 s23, s22, 31
	s_mul_u64 s[52:53], s[52:53], s[54:55]
	s_mul_u64 s[10:11], s[10:11], s[22:23]
	;; [unrolled: 1-line block ×4, first 2 shown]
	s_lshl_b64 s[12:13], s[12:13], 1
	s_lshl_b64 s[10:11], s[10:11], 1
	;; [unrolled: 1-line block ×5, first 2 shown]
	s_cmp_gt_i32 s24, 0
	v_cmp_neq_f64_e64 s2, s[40:41], 1.0
	v_cmp_neq_f64_e64 s66, s[42:43], 0
	s_cselect_b32 s33, -1, 0
	s_cmp_gt_i32 s49, 0
	v_mov_b32_e32 v3, 0
	s_cselect_b32 s51, -1, 0
	s_cmp_gt_i32 s50, 0
	s_cselect_b32 s60, -1, 0
	s_abs_i32 s61, s26
	s_lshl_b64 s[18:19], s[18:19], 1
	s_cvt_f32_u32 s52, s61
	s_lshl_b64 s[16:17], s[16:17], 1
	s_lshl_b64 s[14:15], s[14:15], 1
	s_delay_alu instid0(SALU_CYCLE_1)
	v_rcp_iflag_f32_e32 v1, s52
	s_load_b256 s[52:59], s[0:1], 0x68
	s_wait_xcnt 0x0
	s_add_nc_u64 s[0:1], s[36:37], s[12:13]
	s_add_nc_u64 s[12:13], s[64:65], s[62:63]
	;; [unrolled: 1-line block ×4, first 2 shown]
	s_and_b32 s62, s67, 0xffff
	v_nop
	v_readfirstlane_b32 s68, v1
	s_add_nc_u64 s[12:13], s[12:13], s[28:29]
	v_mov_b32_e32 v1, 0x7e00
	s_ashr_i32 s63, s26, 31
	s_mul_f32 s36, s68, 0x4f7ffffe
	s_delay_alu instid0(SALU_CYCLE_3)
	s_cvt_u32_f32 s0, s36
	s_or_b32 s1, s2, s66
	s_sub_co_i32 s2, 0, s61
	s_wait_kmcnt 0x0
	s_mul_u64 s[28:29], s[52:53], s[34:35]
	s_mul_u64 s[22:23], s[54:55], s[22:23]
	s_mul_i32 s2, s2, s0
	s_lshl_b64 s[28:29], s[28:29], 1
	s_lshl_b64 s[30:31], s[22:23], 1
	s_mul_hi_u32 s2, s0, s2
	s_add_nc_u64 s[28:29], s[28:29], s[30:31]
	s_add_co_i32 s22, s0, s2
	s_mov_b32 s23, s3
	s_add_nc_u64 s[28:29], s[38:39], s[28:29]
	s_mov_b32 s52, 0
	s_branch .LBB3_3
.LBB3_2:                                ;   in Loop: Header=BB3_3 Depth=1
	v_add_nc_u32_e32 v0, s62, v0
	s_delay_alu instid0(VALU_DEP_1)
	v_cmp_le_i32_e32 vcc_lo, s25, v0
	s_or_b32 s52, vcc_lo, s52
	s_wait_xcnt 0x0
	s_and_not1_b32 exec_lo, exec_lo, s52
	s_cbranch_execz .LBB3_19
.LBB3_3:                                ; =>This Loop Header: Depth=1
                                        ;     Child Loop BB3_6 Depth 2
                                        ;       Child Loop BB3_9 Depth 3
                                        ;         Child Loop BB3_12 Depth 4
	v_sub_nc_u32_e32 v2, 0, v0
	s_delay_alu instid0(VALU_DEP_1) | instskip(NEXT) | instid1(VALU_DEP_1)
	v_max_i32_e32 v2, v0, v2
	v_mul_u64_e32 v[4:5], s[22:23], v[2:3]
	s_delay_alu instid0(VALU_DEP_1) | instskip(NEXT) | instid1(VALU_DEP_1)
	v_mul_lo_u32 v4, v5, s61
	v_dual_sub_nc_u32 v2, v2, v4 :: v_dual_add_nc_u32 v4, 1, v5
	s_delay_alu instid0(VALU_DEP_1) | instskip(SKIP_1) | instid1(VALU_DEP_3)
	v_subrev_nc_u32_e32 v6, s61, v2
	v_cmp_le_u32_e32 vcc_lo, s61, v2
	v_cndmask_b32_e32 v4, v5, v4, vcc_lo
	s_delay_alu instid0(VALU_DEP_3) | instskip(NEXT) | instid1(VALU_DEP_2)
	v_dual_cndmask_b32 v2, v2, v6 :: v_dual_ashrrev_i32 v5, 31, v0
	v_add_nc_u32_e32 v6, 1, v4
	s_delay_alu instid0(VALU_DEP_2) | instskip(NEXT) | instid1(VALU_DEP_2)
	v_cmp_le_u32_e32 vcc_lo, s61, v2
	v_dual_cndmask_b32 v2, v4, v6, vcc_lo :: v_dual_bitop2_b32 v5, s63, v5 bitop3:0x14
	s_and_not1_b32 vcc_lo, exec_lo, s33
	s_delay_alu instid0(VALU_DEP_1) | instskip(NEXT) | instid1(VALU_DEP_1)
	v_xor_b32_e32 v2, v2, v5
	v_sub_nc_u32_e32 v6, v2, v5
	s_delay_alu instid0(VALU_DEP_1) | instskip(NEXT) | instid1(VALU_DEP_1)
	v_mul_lo_u32 v2, v6, s26
	v_sub_nc_u32_e32 v10, v0, v2
	s_cbranch_vccnz .LBB3_14
; %bb.4:                                ;   in Loop: Header=BB3_3 Depth=1
	v_mul_lo_u32 v2, v6, s27
	s_delay_alu instid0(VALU_DEP_2) | instskip(SKIP_3) | instid1(VALU_DEP_3)
	v_mul_lo_u32 v8, v10, s44
	v_mov_b64_e32 v[4:5], 0
	s_mov_b32 s2, 0
	s_mov_b64 s[30:31], s[28:29]
	v_subrev_nc_u32_e32 v7, s47, v2
	s_delay_alu instid0(VALU_DEP_3)
	v_subrev_nc_u32_e32 v11, s48, v8
	s_branch .LBB3_6
.LBB3_5:                                ;   in Loop: Header=BB3_6 Depth=2
	s_add_co_i32 s2, s2, 1
	s_add_nc_u64 s[30:31], s[30:31], s[18:19]
	s_cmp_eq_u32 s2, s24
	s_cbranch_scc1 .LBB3_15
.LBB3_6:                                ;   Parent Loop BB3_3 Depth=1
                                        ; =>  This Loop Header: Depth=2
                                        ;       Child Loop BB3_9 Depth 3
                                        ;         Child Loop BB3_12 Depth 4
	s_and_not1_b32 vcc_lo, exec_lo, s51
	s_cbranch_vccnz .LBB3_5
; %bb.7:                                ;   in Loop: Header=BB3_6 Depth=2
	s_mul_u64 s[34:35], s[8:9], s[2:3]
	s_mov_b32 s53, 0
	s_lshl_b64 s[34:35], s[34:35], 1
	s_mov_b64 s[36:37], s[30:31]
	s_add_nc_u64 s[34:35], s[10:11], s[34:35]
	s_branch .LBB3_9
.LBB3_8:                                ;   in Loop: Header=BB3_9 Depth=3
	s_add_co_i32 s53, s53, 1
	s_add_nc_u64 s[36:37], s[36:37], s[16:17]
	s_cmp_eq_u32 s53, s49
	s_cbranch_scc1 .LBB3_5
.LBB3_9:                                ;   Parent Loop BB3_3 Depth=1
                                        ;     Parent Loop BB3_6 Depth=2
                                        ; =>    This Loop Header: Depth=3
                                        ;         Child Loop BB3_12 Depth 4
	s_and_not1_b32 vcc_lo, exec_lo, s60
	s_cbranch_vccnz .LBB3_8
; %bb.10:                               ;   in Loop: Header=BB3_9 Depth=3
	v_mad_u32 v2, s53, s45, v7
	s_mov_b64 s[38:39], s[36:37]
	s_mov_b32 s55, s50
	s_delay_alu instid0(VALU_DEP_1)
	v_mul_u64_e32 v[8:9], s[6:7], v[2:3]
	v_cmp_gt_i32_e32 vcc_lo, 0, v2
	v_cmp_le_i32_e64 s0, s20, v2
	v_mov_b32_e32 v2, v11
	s_or_b32 s54, vcc_lo, s0
	v_lshl_add_u64 v[8:9], v[8:9], 1, s[34:35]
	s_branch .LBB3_12
.LBB3_11:                               ;   in Loop: Header=BB3_12 Depth=4
	s_wait_xcnt 0x0
	s_or_b32 exec_lo, exec_lo, s0
	v_add_nc_u32_e32 v2, s46, v2
	s_add_co_i32 s55, s55, -1
	s_add_nc_u64 s[38:39], s[38:39], s[14:15]
	s_cmp_eq_u32 s55, 0
	s_cbranch_scc1 .LBB3_8
.LBB3_12:                               ;   Parent Loop BB3_3 Depth=1
                                        ;     Parent Loop BB3_6 Depth=2
                                        ;       Parent Loop BB3_9 Depth=3
                                        ; =>      This Inner Loop Header: Depth=4
	s_delay_alu instid0(VALU_DEP_2) | instskip(SKIP_2) | instid1(SALU_CYCLE_1)
	v_cmp_gt_i32_e32 vcc_lo, 0, v2
	v_cmp_le_i32_e64 s0, s21, v2
	s_or_b32 s0, vcc_lo, s0
	s_nor_b32 s64, s54, s0
	s_delay_alu instid0(SALU_CYCLE_1)
	s_and_saveexec_b32 s0, s64
	s_cbranch_execz .LBB3_11
; %bb.13:                               ;   in Loop: Header=BB3_12 Depth=4
	v_mul_u64_e32 v[12:13], s[4:5], v[2:3]
	s_delay_alu instid0(VALU_DEP_1)
	v_lshl_add_u64 v[12:13], v[12:13], 1, v[8:9]
	global_load_u16 v12, v[12:13], off
	global_load_u16 v13, v3, s[38:39]
	s_wait_loadcnt 0x1
	v_cvt_f32_f16_e32 v12, v12
	s_wait_loadcnt 0x0
	v_cvt_f32_f16_e32 v14, v13
	s_delay_alu instid0(VALU_DEP_2) | instskip(NEXT) | instid1(VALU_DEP_2)
	v_cvt_f64_f32_e32 v[12:13], v12
	v_cvt_f64_f32_e32 v[14:15], v14
	s_delay_alu instid0(VALU_DEP_1)
	v_fmac_f64_e32 v[4:5], v[12:13], v[14:15]
	s_branch .LBB3_11
.LBB3_14:                               ;   in Loop: Header=BB3_3 Depth=1
	v_mov_b64_e32 v[4:5], 0
.LBB3_15:                               ;   in Loop: Header=BB3_3 Depth=1
	v_ashrrev_i32_e32 v7, 31, v6
	s_and_b32 vcc_lo, exec_lo, s1
	s_mov_b32 s0, -1
	s_delay_alu instid0(VALU_DEP_1) | instskip(NEXT) | instid1(VALU_DEP_1)
	v_mul_u64_e32 v[6:7], s[58:59], v[6:7]
	v_mad_nc_u64_u32 v[6:7], s56, v10, v[6:7]
	s_delay_alu instid0(VALU_DEP_1) | instskip(SKIP_1) | instid1(VALU_DEP_1)
	v_mad_u32 v2, s57, v10, v7
	v_ashrrev_i32_e32 v7, 31, v10
	v_mad_u32 v7, s56, v7, v2
	s_cbranch_vccz .LBB3_17
; %bb.16:                               ;   in Loop: Header=BB3_3 Depth=1
	s_delay_alu instid0(VALU_DEP_1) | instskip(SKIP_4) | instid1(VALU_DEP_1)
	v_lshl_add_u64 v[8:9], v[6:7], 1, s[12:13]
	s_mov_b32 s0, 0
	global_load_u16 v2, v[8:9], off
	s_wait_loadcnt 0x0
	v_cvt_f32_f16_e32 v2, v2
	v_cvt_f64_f32_e32 v[10:11], v2
	s_delay_alu instid0(VALU_DEP_1) | instskip(NEXT) | instid1(VALU_DEP_1)
	v_mul_f64_e32 v[10:11], s[42:43], v[10:11]
	v_fmac_f64_e32 v[10:11], s[40:41], v[4:5]
	s_delay_alu instid0(VALU_DEP_1) | instskip(SKIP_2) | instid1(VALU_DEP_3)
	v_and_or_b32 v2, 0x1ff, v11, v10
	v_lshrrev_b32_e32 v10, 8, v11
	v_bfe_u32 v12, v11, 20, 11
	v_cmp_ne_u32_e32 vcc_lo, 0, v2
	s_delay_alu instid0(VALU_DEP_2) | instskip(SKIP_2) | instid1(VALU_DEP_1)
	v_sub_nc_u32_e32 v13, 0x3f1, v12
	v_add_nc_u32_e32 v12, 0xfffffc10, v12
	v_cndmask_b32_e64 v2, 0, 1, vcc_lo
	v_and_or_b32 v2, 0xffe, v10, v2
	s_delay_alu instid0(VALU_DEP_4) | instskip(NEXT) | instid1(VALU_DEP_2)
	v_med3_i32 v10, v13, 0, 13
	v_or_b32_e32 v13, 0x1000, v2
	s_delay_alu instid0(VALU_DEP_1) | instskip(NEXT) | instid1(VALU_DEP_1)
	v_lshrrev_b32_e32 v14, v10, v13
	v_lshlrev_b32_e32 v10, v10, v14
	s_delay_alu instid0(VALU_DEP_1) | instskip(SKIP_3) | instid1(VALU_DEP_2)
	v_cmp_ne_u32_e32 vcc_lo, v10, v13
	v_lshl_or_b32 v13, v12, 12, v2
	v_cndmask_b32_e64 v10, 0, 1, vcc_lo
	v_cmp_gt_i32_e32 vcc_lo, 1, v12
	v_or_b32_e32 v10, v14, v10
	s_delay_alu instid0(VALU_DEP_1) | instskip(NEXT) | instid1(VALU_DEP_1)
	v_cndmask_b32_e32 v10, v13, v10, vcc_lo
	v_dual_lshrrev_b32 v10, 2, v10 :: v_dual_bitop2_b32 v13, 7, v10 bitop3:0x40
	s_delay_alu instid0(VALU_DEP_1) | instskip(SKIP_4) | instid1(VALU_DEP_2)
	v_cmp_lt_i32_e32 vcc_lo, 5, v13
	v_cndmask_b32_e64 v14, 0, 1, vcc_lo
	v_cmp_eq_u32_e32 vcc_lo, 3, v13
	v_cndmask_b32_e64 v13, 0, 1, vcc_lo
	v_cmp_ne_u32_e32 vcc_lo, 0, v2
	v_or_b32_e32 v13, v13, v14
	v_cndmask_b32_e32 v2, 0x7c00, v1, vcc_lo
	v_cmp_gt_i32_e32 vcc_lo, 31, v12
	s_delay_alu instid0(VALU_DEP_3) | instskip(NEXT) | instid1(VALU_DEP_1)
	v_add_nc_u32_e32 v10, v10, v13
	v_cndmask_b32_e32 v10, 0x7c00, v10, vcc_lo
	v_cmp_eq_u32_e32 vcc_lo, 0x40f, v12
	s_delay_alu instid0(VALU_DEP_2) | instskip(NEXT) | instid1(VALU_DEP_1)
	v_dual_cndmask_b32 v2, v10, v2, vcc_lo :: v_dual_lshrrev_b32 v10, 16, v11
	v_and_or_b32 v2, 0x8000, v10, v2
	global_store_b16 v[8:9], v2, off
.LBB3_17:                               ;   in Loop: Header=BB3_3 Depth=1
	s_and_not1_b32 vcc_lo, exec_lo, s0
	s_cbranch_vccnz .LBB3_2
; %bb.18:                               ;   in Loop: Header=BB3_3 Depth=1
	s_wait_xcnt 0x0
	v_and_or_b32 v2, 0x1ff, v5, v4
	v_lshrrev_b32_e32 v4, 8, v5
	v_bfe_u32 v8, v5, 20, 11
	v_lshrrev_b32_e32 v5, 16, v5
	s_delay_alu instid0(VALU_DEP_4) | instskip(NEXT) | instid1(VALU_DEP_3)
	v_cmp_ne_u32_e32 vcc_lo, 0, v2
	v_sub_nc_u32_e32 v9, 0x3f1, v8
	v_add_nc_u32_e32 v8, 0xfffffc10, v8
	v_cndmask_b32_e64 v2, 0, 1, vcc_lo
	s_delay_alu instid0(VALU_DEP_1) | instskip(NEXT) | instid1(VALU_DEP_4)
	v_and_or_b32 v2, 0xffe, v4, v2
	v_med3_i32 v4, v9, 0, 13
	s_delay_alu instid0(VALU_DEP_2) | instskip(NEXT) | instid1(VALU_DEP_1)
	v_or_b32_e32 v9, 0x1000, v2
	v_lshrrev_b32_e32 v10, v4, v9
	s_delay_alu instid0(VALU_DEP_1) | instskip(NEXT) | instid1(VALU_DEP_1)
	v_lshlrev_b32_e32 v4, v4, v10
	v_cmp_ne_u32_e32 vcc_lo, v4, v9
	v_lshl_or_b32 v9, v8, 12, v2
	v_cndmask_b32_e64 v4, 0, 1, vcc_lo
	v_cmp_gt_i32_e32 vcc_lo, 1, v8
	s_delay_alu instid0(VALU_DEP_2) | instskip(NEXT) | instid1(VALU_DEP_1)
	v_or_b32_e32 v4, v10, v4
	v_cndmask_b32_e32 v4, v9, v4, vcc_lo
	s_delay_alu instid0(VALU_DEP_1) | instskip(NEXT) | instid1(VALU_DEP_1)
	v_dual_lshrrev_b32 v4, 2, v4 :: v_dual_bitop2_b32 v9, 7, v4 bitop3:0x40
	v_cmp_lt_i32_e32 vcc_lo, 5, v9
	v_cndmask_b32_e64 v10, 0, 1, vcc_lo
	v_cmp_eq_u32_e32 vcc_lo, 3, v9
	v_cndmask_b32_e64 v9, 0, 1, vcc_lo
	v_cmp_ne_u32_e32 vcc_lo, 0, v2
	s_delay_alu instid0(VALU_DEP_2) | instskip(SKIP_2) | instid1(VALU_DEP_3)
	v_or_b32_e32 v9, v9, v10
	v_cndmask_b32_e32 v2, 0x7c00, v1, vcc_lo
	v_cmp_gt_i32_e32 vcc_lo, 31, v8
	v_add_nc_u32_e32 v4, v4, v9
	s_delay_alu instid0(VALU_DEP_1) | instskip(SKIP_1) | instid1(VALU_DEP_2)
	v_cndmask_b32_e32 v4, 0x7c00, v4, vcc_lo
	v_cmp_eq_u32_e32 vcc_lo, 0x40f, v8
	v_cndmask_b32_e32 v2, v4, v2, vcc_lo
	s_delay_alu instid0(VALU_DEP_1)
	v_and_or_b32 v2, 0x8000, v5, v2
	v_lshl_add_u64 v[4:5], v[6:7], 1, s[12:13]
	global_store_b16 v[4:5], v2, off
	s_branch .LBB3_2
.LBB3_19:
	s_endpgm
	.section	.rodata,"a",@progbits
	.p2align	6, 0x0
	.amdhsa_kernel naive_conv_ab_nonpacked_fwd_nchw_half_double_half
		.amdhsa_group_segment_fixed_size 0
		.amdhsa_private_segment_fixed_size 0
		.amdhsa_kernarg_size 480
		.amdhsa_user_sgpr_count 2
		.amdhsa_user_sgpr_dispatch_ptr 0
		.amdhsa_user_sgpr_queue_ptr 0
		.amdhsa_user_sgpr_kernarg_segment_ptr 1
		.amdhsa_user_sgpr_dispatch_id 0
		.amdhsa_user_sgpr_kernarg_preload_length 0
		.amdhsa_user_sgpr_kernarg_preload_offset 0
		.amdhsa_user_sgpr_private_segment_size 0
		.amdhsa_wavefront_size32 1
		.amdhsa_uses_dynamic_stack 0
		.amdhsa_enable_private_segment 0
		.amdhsa_system_sgpr_workgroup_id_x 1
		.amdhsa_system_sgpr_workgroup_id_y 0
		.amdhsa_system_sgpr_workgroup_id_z 0
		.amdhsa_system_sgpr_workgroup_info 0
		.amdhsa_system_vgpr_workitem_id 0
		.amdhsa_next_free_vgpr 16
		.amdhsa_next_free_sgpr 69
		.amdhsa_named_barrier_count 0
		.amdhsa_reserve_vcc 1
		.amdhsa_float_round_mode_32 0
		.amdhsa_float_round_mode_16_64 0
		.amdhsa_float_denorm_mode_32 3
		.amdhsa_float_denorm_mode_16_64 3
		.amdhsa_fp16_overflow 0
		.amdhsa_memory_ordered 1
		.amdhsa_forward_progress 1
		.amdhsa_inst_pref_size 15
		.amdhsa_round_robin_scheduling 0
		.amdhsa_exception_fp_ieee_invalid_op 0
		.amdhsa_exception_fp_denorm_src 0
		.amdhsa_exception_fp_ieee_div_zero 0
		.amdhsa_exception_fp_ieee_overflow 0
		.amdhsa_exception_fp_ieee_underflow 0
		.amdhsa_exception_fp_ieee_inexact 0
		.amdhsa_exception_int_div_zero 0
	.end_amdhsa_kernel
	.text
.Lfunc_end3:
	.size	naive_conv_ab_nonpacked_fwd_nchw_half_double_half, .Lfunc_end3-naive_conv_ab_nonpacked_fwd_nchw_half_double_half
                                        ; -- End function
	.set naive_conv_ab_nonpacked_fwd_nchw_half_double_half.num_vgpr, 16
	.set naive_conv_ab_nonpacked_fwd_nchw_half_double_half.num_agpr, 0
	.set naive_conv_ab_nonpacked_fwd_nchw_half_double_half.numbered_sgpr, 69
	.set naive_conv_ab_nonpacked_fwd_nchw_half_double_half.num_named_barrier, 0
	.set naive_conv_ab_nonpacked_fwd_nchw_half_double_half.private_seg_size, 0
	.set naive_conv_ab_nonpacked_fwd_nchw_half_double_half.uses_vcc, 1
	.set naive_conv_ab_nonpacked_fwd_nchw_half_double_half.uses_flat_scratch, 0
	.set naive_conv_ab_nonpacked_fwd_nchw_half_double_half.has_dyn_sized_stack, 0
	.set naive_conv_ab_nonpacked_fwd_nchw_half_double_half.has_recursion, 0
	.set naive_conv_ab_nonpacked_fwd_nchw_half_double_half.has_indirect_call, 0
	.section	.AMDGPU.csdata,"",@progbits
; Kernel info:
; codeLenInByte = 1908
; TotalNumSgprs: 71
; NumVgprs: 16
; ScratchSize: 0
; MemoryBound: 0
; FloatMode: 240
; IeeeMode: 1
; LDSByteSize: 0 bytes/workgroup (compile time only)
; SGPRBlocks: 0
; VGPRBlocks: 0
; NumSGPRsForWavesPerEU: 71
; NumVGPRsForWavesPerEU: 16
; NamedBarCnt: 0
; Occupancy: 16
; WaveLimiterHint : 0
; COMPUTE_PGM_RSRC2:SCRATCH_EN: 0
; COMPUTE_PGM_RSRC2:USER_SGPR: 2
; COMPUTE_PGM_RSRC2:TRAP_HANDLER: 0
; COMPUTE_PGM_RSRC2:TGID_X_EN: 1
; COMPUTE_PGM_RSRC2:TGID_Y_EN: 0
; COMPUTE_PGM_RSRC2:TGID_Z_EN: 0
; COMPUTE_PGM_RSRC2:TIDIG_COMP_CNT: 0
	.text
	.protected	naive_conv_ab_packed_fwd_nchw_ushort_double_ushort ; -- Begin function naive_conv_ab_packed_fwd_nchw_ushort_double_ushort
	.globl	naive_conv_ab_packed_fwd_nchw_ushort_double_ushort
	.p2align	8
	.type	naive_conv_ab_packed_fwd_nchw_ushort_double_ushort,@function
naive_conv_ab_packed_fwd_nchw_ushort_double_ushort: ; @naive_conv_ab_packed_fwd_nchw_ushort_double_ushort
; %bb.0:
	s_load_b512 s[4:19], s[0:1], 0xa0
	s_bfe_u32 s2, ttmp6, 0x4000c
	s_and_b32 s3, ttmp6, 15
	s_add_co_i32 s2, s2, 1
	s_getreg_b32 s20, hwreg(HW_REG_IB_STS2, 6, 4)
	s_mul_i32 s2, ttmp9, s2
	s_mov_b32 s26, exec_lo
	s_add_co_i32 s3, s3, s2
	s_cmp_eq_u32 s20, 0
	s_cselect_b32 s20, ttmp9, s3
	s_wait_kmcnt 0x0
	s_abs_i32 s3, s7
	s_mul_i32 s33, s10, s9
	s_cvt_f32_u32 s2, s3
	s_delay_alu instid0(SALU_CYCLE_3) | instskip(SKIP_1) | instid1(TRANS32_DEP_1)
	v_rcp_iflag_f32_e32 v1, s2
	v_nop
	v_readfirstlane_b32 s2, v1
	s_mul_f32 s2, s2, 0x4f7ffffe
	s_delay_alu instid0(SALU_CYCLE_3) | instskip(SKIP_1) | instid1(SALU_CYCLE_2)
	s_cvt_u32_f32 s21, s2
	s_sub_co_i32 s2, 0, s3
	s_mul_i32 s2, s2, s21
	s_delay_alu instid0(SALU_CYCLE_1) | instskip(SKIP_2) | instid1(SALU_CYCLE_1)
	s_mul_hi_u32 s22, s21, s2
	s_abs_i32 s2, s20
	s_add_co_i32 s21, s21, s22
	s_mul_hi_u32 s21, s2, s21
	s_delay_alu instid0(SALU_CYCLE_1) | instskip(SKIP_2) | instid1(SALU_CYCLE_1)
	s_mul_i32 s22, s21, s3
	s_add_co_i32 s23, s21, 1
	s_sub_co_i32 s22, s2, s22
	s_sub_co_i32 s24, s22, s3
	s_cmp_ge_u32 s22, s3
	s_cselect_b32 s21, s23, s21
	s_cselect_b32 s22, s24, s22
	s_add_co_i32 s23, s21, 1
	s_cmp_ge_u32 s22, s3
	s_mul_i32 s22, s7, s6
	s_cselect_b32 s24, s23, s21
	s_abs_i32 s21, s6
	s_abs_i32 s6, s22
	s_cvt_f32_u32 s3, s21
	s_cvt_f32_u32 s23, s6
	s_delay_alu instid0(SALU_CYCLE_2) | instskip(NEXT) | instid1(SALU_CYCLE_2)
	v_rcp_iflag_f32_e32 v1, s3
	v_rcp_iflag_f32_e32 v2, s23
	s_mov_b32 s3, 0
	s_delay_alu instid0(TRANS32_DEP_2) | instskip(NEXT) | instid1(TRANS32_DEP_1)
	v_readfirstlane_b32 s25, v1
	v_readfirstlane_b32 s23, v2
	v_cmpx_gt_i32_e64 s33, v0
	s_cbranch_execz .LBB4_19
; %bb.1:
	s_ashr_i32 s28, s20, 31
	s_ashr_i32 s37, s7, 31
	s_mul_f32 s25, s25, 0x4f7ffffe
	s_xor_b32 s26, s28, s37
	s_mul_f32 s23, s23, 0x4f7ffffe
	s_xor_b32 s24, s24, s26
	s_cvt_u32_f32 s25, s25
	s_sub_co_i32 s29, s24, s26
	s_sub_co_i32 s24, 0, s21
	s_cvt_u32_f32 s23, s23
	s_mul_i32 s24, s24, s25
	s_sub_co_i32 s31, 0, s6
	s_mul_hi_u32 s26, s25, s24
	s_abs_i32 s24, s29
	s_add_co_i32 s26, s25, s26
	s_mov_b32 s25, s3
	s_mov_b32 s27, s3
	s_mul_i32 s31, s31, s23
	s_mul_u64 s[26:27], s[24:25], s[26:27]
	s_mul_hi_u32 s25, s23, s31
	s_ashr_i32 s26, s22, 31
	s_add_co_i32 s22, s23, s25
	s_mul_i32 s23, s27, s21
	s_ashr_i32 s30, s29, 31
	s_mul_i32 s29, s29, s7
	s_sub_co_i32 s23, s24, s23
	s_sub_co_i32 s38, s20, s29
	;; [unrolled: 1-line block ×3, first 2 shown]
	s_cmp_ge_u32 s23, s21
	s_mov_b32 s36, s7
	s_cselect_b32 s20, s20, s23
	s_mov_b32 s34, s5
	s_sub_co_i32 s23, s20, s21
	s_cmp_ge_u32 s20, s21
	v_mov_b32_e32 v3, 0
	s_cselect_b32 s20, s23, s20
	s_mov_b32 s23, s3
	s_xor_b32 s24, s20, s30
	s_mul_u64 s[20:21], s[2:3], s[22:23]
	s_sub_co_i32 s40, s24, s30
	s_mul_i32 s20, s21, s6
	s_xor_b32 s30, s28, s26
	s_sub_co_i32 s2, s2, s20
	s_add_co_i32 s20, s21, 1
	s_sub_co_i32 s22, s2, s6
	s_cmp_ge_u32 s2, s6
	s_cselect_b32 s28, s20, s21
	s_cselect_b32 s2, s22, s2
	s_load_b256 s[20:27], s[0:1], 0x0
	s_add_co_i32 s29, s28, 1
	s_cmp_ge_u32 s2, s6
	s_mul_i32 s6, s19, s7
	s_cselect_b32 s2, s29, s28
	s_mul_i32 s28, s19, s8
	s_xor_b32 s2, s2, s30
	s_ashr_i32 s41, s40, 31
	s_sub_co_i32 s42, s2, s30
	s_ashr_i32 s29, s28, 31
	s_ashr_i32 s43, s42, 31
	;; [unrolled: 1-line block ×3, first 2 shown]
	s_mov_b32 s30, s8
	s_mul_u64 s[36:37], s[42:43], s[36:37]
	s_ashr_i32 s39, s38, 31
	s_ashr_i32 s7, s6, 31
	s_mul_u64 s[44:45], s[40:41], s[28:29]
	s_ashr_i32 s29, s4, 31
	s_mov_b32 s28, s4
	s_ashr_i32 s35, s5, 31
	s_mul_u64 s[46:47], s[42:43], s[30:31]
	s_add_nc_u64 s[36:37], s[36:37], s[38:39]
	s_mul_u64 s[38:39], s[40:41], s[6:7]
	s_ashr_i32 s41, s9, 31
	s_mov_b32 s40, s9
	s_ashr_i32 s7, s10, 31
	s_mov_b32 s6, s10
	s_add_nc_u64 s[4:5], s[46:47], s[44:45]
	s_mul_u64 s[44:45], s[34:35], s[28:29]
	s_add_nc_u64 s[38:39], s[36:37], s[38:39]
	s_mul_u64 s[40:41], s[6:7], s[40:41]
	s_wait_kmcnt 0x0
	v_cmp_neq_f64_e64 s2, s[24:25], 1.0
	v_cmp_neq_f64_e64 s42, s[26:27], 0
	s_mul_u64 s[4:5], s[44:45], s[4:5]
	s_mul_u64 s[38:39], s[40:41], s[38:39]
	s_lshl_b64 s[44:45], s[4:5], 1
	s_ashr_i32 s5, s17, 31
	s_ashr_i32 s19, s18, 31
	s_lshl_b64 s[38:39], s[38:39], 1
	s_cmp_gt_i32 s8, 0
	s_load_b64 s[40:41], s[0:1], 0x20
	s_cselect_b32 s50, -1, 0
	s_cmp_gt_i32 s17, 0
	s_wait_xcnt 0x0
	s_load_b32 s0, s[0:1], 0xec
	s_cselect_b32 s51, -1, 0
	s_cmp_gt_i32 s18, 0
	s_add_nc_u64 s[8:9], s[20:21], s[44:45]
	s_cselect_b32 s52, -1, 0
	s_abs_i32 s10, s10
	s_delay_alu instid0(SALU_CYCLE_1) | instskip(NEXT) | instid1(SALU_CYCLE_3)
	s_cvt_f32_u32 s4, s10
	v_rcp_iflag_f32_e32 v1, s4
	s_mov_b32 s4, s17
	s_wait_kmcnt 0x0
	s_add_nc_u64 s[20:21], s[40:41], s[38:39]
	v_nop
	s_delay_alu instid0(TRANS32_DEP_1)
	v_readfirstlane_b32 s1, v1
	s_mul_u64 s[38:39], s[18:19], s[4:5]
	s_and_b32 s17, s0, 0xffff
	s_sub_co_i32 s0, 0, s10
	s_mul_u64 s[36:37], s[38:39], s[36:37]
	s_mul_f32 s43, s1, 0x4f7ffffe
	s_or_b32 s1, s2, s42
	s_mul_u64 s[40:41], s[36:37], s[30:31]
	s_mov_b32 s37, s3
	s_cvt_u32_f32 s2, s43
	s_lshl_b64 s[40:41], s[40:41], 1
	s_lshl_b64 s[38:39], s[38:39], 1
	s_add_nc_u64 s[22:23], s[22:23], s[40:41]
	s_mul_i32 s0, s0, s2
	s_lshl_b64 s[40:41], s[18:19], 1
	s_mul_hi_u32 s0, s2, s0
	s_mov_b32 s5, 0
	s_add_co_i32 s36, s2, s0
	s_branch .LBB4_3
.LBB4_2:                                ;   in Loop: Header=BB4_3 Depth=1
	v_add_nc_u32_e32 v0, s17, v0
	s_delay_alu instid0(VALU_DEP_1)
	v_cmp_le_i32_e32 vcc_lo, s33, v0
	s_or_b32 s5, vcc_lo, s5
	s_wait_xcnt 0x0
	s_and_not1_b32 exec_lo, exec_lo, s5
	s_cbranch_execz .LBB4_19
.LBB4_3:                                ; =>This Loop Header: Depth=1
                                        ;     Child Loop BB4_6 Depth 2
                                        ;       Child Loop BB4_9 Depth 3
                                        ;         Child Loop BB4_12 Depth 4
	v_sub_nc_u32_e32 v1, 0, v0
	s_delay_alu instid0(VALU_DEP_1) | instskip(NEXT) | instid1(VALU_DEP_1)
	v_max_i32_e32 v2, v0, v1
	v_mul_u64_e32 v[4:5], s[36:37], v[2:3]
	s_delay_alu instid0(VALU_DEP_1) | instskip(NEXT) | instid1(VALU_DEP_1)
	v_mul_lo_u32 v1, v5, s10
	v_sub_nc_u32_e32 v1, v2, v1
	v_add_nc_u32_e32 v2, 1, v5
	s_delay_alu instid0(VALU_DEP_2) | instskip(NEXT) | instid1(VALU_DEP_2)
	v_cmp_le_u32_e32 vcc_lo, s10, v1
	v_cndmask_b32_e32 v2, v5, v2, vcc_lo
	v_subrev_nc_u32_e32 v4, s10, v1
	v_ashrrev_i32_e32 v5, 31, v0
	s_delay_alu instid0(VALU_DEP_2) | instskip(NEXT) | instid1(VALU_DEP_1)
	v_dual_cndmask_b32 v1, v1, v4 :: v_dual_add_nc_u32 v4, 1, v2
	v_cmp_le_u32_e32 vcc_lo, s10, v1
	s_delay_alu instid0(VALU_DEP_2) | instskip(SKIP_1) | instid1(VALU_DEP_1)
	v_dual_cndmask_b32 v1, v2, v4, vcc_lo :: v_dual_bitop2_b32 v5, s7, v5 bitop3:0x14
	s_and_not1_b32 vcc_lo, exec_lo, s50
	v_xor_b32_e32 v1, v1, v5
	s_delay_alu instid0(VALU_DEP_1) | instskip(NEXT) | instid1(VALU_DEP_1)
	v_sub_nc_u32_e32 v1, v1, v5
	v_mul_lo_u32 v2, v1, s6
	s_delay_alu instid0(VALU_DEP_1)
	v_sub_nc_u32_e32 v6, v0, v2
	s_cbranch_vccnz .LBB4_14
; %bb.4:                                ;   in Loop: Header=BB4_3 Depth=1
	v_mul_lo_u32 v2, v1, s11
	s_delay_alu instid0(VALU_DEP_2) | instskip(SKIP_3) | instid1(VALU_DEP_3)
	v_mul_lo_u32 v8, v6, s12
	v_mov_b64_e32 v[4:5], 0
	s_mov_b32 s2, 0
	s_mov_b64 s[42:43], s[22:23]
	v_subrev_nc_u32_e32 v7, s15, v2
	s_delay_alu instid0(VALU_DEP_3)
	v_subrev_nc_u32_e32 v10, s16, v8
	s_branch .LBB4_6
.LBB4_5:                                ;   in Loop: Header=BB4_6 Depth=2
	s_add_co_i32 s2, s2, 1
	s_add_nc_u64 s[42:43], s[42:43], s[38:39]
	s_cmp_eq_u32 s2, s30
	s_cbranch_scc1 .LBB4_15
.LBB4_6:                                ;   Parent Loop BB4_3 Depth=1
                                        ; =>  This Loop Header: Depth=2
                                        ;       Child Loop BB4_9 Depth 3
                                        ;         Child Loop BB4_12 Depth 4
	s_and_not1_b32 vcc_lo, exec_lo, s51
	s_cbranch_vccnz .LBB4_5
; %bb.7:                                ;   in Loop: Header=BB4_6 Depth=2
	s_mul_u64 s[44:45], s[2:3], s[28:29]
	s_mov_b32 s19, 0
	s_mov_b64 s[46:47], s[42:43]
	s_branch .LBB4_9
.LBB4_8:                                ;   in Loop: Header=BB4_9 Depth=3
	s_add_co_i32 s19, s19, 1
	s_add_nc_u64 s[46:47], s[46:47], s[40:41]
	s_cmp_eq_u32 s19, s4
	s_cbranch_scc1 .LBB4_5
.LBB4_9:                                ;   Parent Loop BB4_3 Depth=1
                                        ;     Parent Loop BB4_6 Depth=2
                                        ; =>    This Loop Header: Depth=3
                                        ;         Child Loop BB4_12 Depth 4
	s_and_not1_b32 vcc_lo, exec_lo, s52
	s_cbranch_vccnz .LBB4_8
; %bb.10:                               ;   in Loop: Header=BB4_9 Depth=3
	v_mad_u32 v2, s19, s13, v7
	s_mov_b64 s[48:49], s[46:47]
	s_mov_b32 s53, s18
	s_delay_alu instid0(VALU_DEP_1)
	v_add_nc_u64_e32 v[8:9], s[44:45], v[2:3]
	v_cmp_gt_i32_e32 vcc_lo, 0, v2
	v_cmp_le_i32_e64 s0, s28, v2
	v_mov_b32_e32 v2, v10
	s_or_b32 s31, vcc_lo, s0
	v_mul_u64_e32 v[8:9], s[34:35], v[8:9]
	s_delay_alu instid0(VALU_DEP_1)
	v_lshl_add_u64 v[8:9], v[8:9], 1, s[8:9]
	s_branch .LBB4_12
.LBB4_11:                               ;   in Loop: Header=BB4_12 Depth=4
	s_or_b32 exec_lo, exec_lo, s0
	v_add_nc_u32_e32 v2, s14, v2
	s_add_co_i32 s53, s53, -1
	s_add_nc_u64 s[48:49], s[48:49], 2
	s_cmp_eq_u32 s53, 0
	s_cbranch_scc1 .LBB4_8
.LBB4_12:                               ;   Parent Loop BB4_3 Depth=1
                                        ;     Parent Loop BB4_6 Depth=2
                                        ;       Parent Loop BB4_9 Depth=3
                                        ; =>      This Inner Loop Header: Depth=4
	v_cmp_gt_i32_e32 vcc_lo, 0, v2
	v_cmp_le_i32_e64 s0, s34, v2
	s_or_b32 s0, vcc_lo, s0
	s_delay_alu instid0(SALU_CYCLE_1) | instskip(NEXT) | instid1(SALU_CYCLE_1)
	s_nor_b32 s54, s31, s0
	s_and_saveexec_b32 s0, s54
	s_cbranch_execz .LBB4_11
; %bb.13:                               ;   in Loop: Header=BB4_12 Depth=4
	v_lshl_add_u64 v[12:13], v[2:3], 1, v[8:9]
	s_load_u16 s54, s[48:49], 0x0
	global_load_u16 v11, v[12:13], off
	s_wait_kmcnt 0x0
	s_lshl_b32 s54, s54, 16
	s_wait_xcnt 0x0
	v_cvt_f64_f32_e32 v[12:13], s54
	s_wait_loadcnt 0x0
	v_lshlrev_b32_e32 v11, 16, v11
	s_delay_alu instid0(VALU_DEP_1) | instskip(NEXT) | instid1(VALU_DEP_1)
	v_cvt_f64_f32_e32 v[14:15], v11
	v_fmac_f64_e32 v[4:5], v[14:15], v[12:13]
	s_branch .LBB4_11
.LBB4_14:                               ;   in Loop: Header=BB4_3 Depth=1
	v_mov_b64_e32 v[4:5], 0
.LBB4_15:                               ;   in Loop: Header=BB4_3 Depth=1
	s_delay_alu instid0(VALU_DEP_2) | instskip(SKIP_2) | instid1(VALU_DEP_1)
	v_ashrrev_i32_e32 v7, 31, v6
	s_and_b32 vcc_lo, exec_lo, s1
	s_mov_b32 s0, -1
	v_mad_nc_i64_i32 v[6:7], v1, s6, v[6:7]
	s_cbranch_vccz .LBB4_17
; %bb.16:                               ;   in Loop: Header=BB4_3 Depth=1
	s_delay_alu instid0(VALU_DEP_1) | instskip(SKIP_3) | instid1(VALU_DEP_1)
	v_lshl_add_u64 v[8:9], v[6:7], 1, s[20:21]
	global_load_u16 v1, v[8:9], off
	s_wait_loadcnt 0x0
	v_lshlrev_b32_e32 v1, 16, v1
	v_cvt_f64_f32_e32 v[10:11], v1
	s_delay_alu instid0(VALU_DEP_1) | instskip(NEXT) | instid1(VALU_DEP_1)
	v_mul_f64_e32 v[10:11], s[26:27], v[10:11]
	v_fmac_f64_e32 v[10:11], s[24:25], v[4:5]
	s_delay_alu instid0(VALU_DEP_1) | instskip(NEXT) | instid1(VALU_DEP_1)
	v_cvt_f32_f64_e32 v1, v[10:11]
	v_and_b32_e32 v2, 0x7f800000, v1
	v_and_b32_e32 v10, 0xffff, v1
	v_lshrrev_b32_e32 v1, 16, v1
	s_delay_alu instid0(VALU_DEP_3) | instskip(NEXT) | instid1(VALU_DEP_3)
	v_cmp_eq_u32_e32 vcc_lo, 0x7f800000, v2
	v_cmp_ne_u32_e64 s0, 0, v10
	s_and_b32 s0, vcc_lo, s0
	s_delay_alu instid0(SALU_CYCLE_1) | instskip(SKIP_1) | instid1(VALU_DEP_1)
	v_cndmask_b32_e64 v2, 0, 1, s0
	s_mov_b32 s0, 0
	v_or_b32_e32 v1, v1, v2
	global_store_b16 v[8:9], v1, off
.LBB4_17:                               ;   in Loop: Header=BB4_3 Depth=1
	s_and_not1_b32 vcc_lo, exec_lo, s0
	s_cbranch_vccnz .LBB4_2
; %bb.18:                               ;   in Loop: Header=BB4_3 Depth=1
	s_wait_xcnt 0x0
	s_delay_alu instid0(VALU_DEP_3) | instskip(NEXT) | instid1(VALU_DEP_1)
	v_cvt_f32_f64_e32 v1, v[4:5]
	v_and_b32_e32 v2, 0x7f800000, v1
	v_and_b32_e32 v4, 0xffff, v1
	v_lshrrev_b32_e32 v1, 16, v1
	s_delay_alu instid0(VALU_DEP_3) | instskip(NEXT) | instid1(VALU_DEP_3)
	v_cmp_eq_u32_e32 vcc_lo, 0x7f800000, v2
	v_cmp_ne_u32_e64 s0, 0, v4
	v_lshl_add_u64 v[4:5], v[6:7], 1, s[20:21]
	s_and_b32 s0, vcc_lo, s0
	s_delay_alu instid0(SALU_CYCLE_1) | instskip(NEXT) | instid1(VALU_DEP_1)
	v_cndmask_b32_e64 v2, 0, 1, s0
	v_or_b32_e32 v1, v1, v2
	global_store_b16 v[4:5], v1, off
	s_branch .LBB4_2
.LBB4_19:
	s_endpgm
	.section	.rodata,"a",@progbits
	.p2align	6, 0x0
	.amdhsa_kernel naive_conv_ab_packed_fwd_nchw_ushort_double_ushort
		.amdhsa_group_segment_fixed_size 0
		.amdhsa_private_segment_fixed_size 0
		.amdhsa_kernarg_size 480
		.amdhsa_user_sgpr_count 2
		.amdhsa_user_sgpr_dispatch_ptr 0
		.amdhsa_user_sgpr_queue_ptr 0
		.amdhsa_user_sgpr_kernarg_segment_ptr 1
		.amdhsa_user_sgpr_dispatch_id 0
		.amdhsa_user_sgpr_kernarg_preload_length 0
		.amdhsa_user_sgpr_kernarg_preload_offset 0
		.amdhsa_user_sgpr_private_segment_size 0
		.amdhsa_wavefront_size32 1
		.amdhsa_uses_dynamic_stack 0
		.amdhsa_enable_private_segment 0
		.amdhsa_system_sgpr_workgroup_id_x 1
		.amdhsa_system_sgpr_workgroup_id_y 0
		.amdhsa_system_sgpr_workgroup_id_z 0
		.amdhsa_system_sgpr_workgroup_info 0
		.amdhsa_system_vgpr_workitem_id 0
		.amdhsa_next_free_vgpr 16
		.amdhsa_next_free_sgpr 55
		.amdhsa_named_barrier_count 0
		.amdhsa_reserve_vcc 1
		.amdhsa_float_round_mode_32 0
		.amdhsa_float_round_mode_16_64 0
		.amdhsa_float_denorm_mode_32 3
		.amdhsa_float_denorm_mode_16_64 3
		.amdhsa_fp16_overflow 0
		.amdhsa_memory_ordered 1
		.amdhsa_forward_progress 1
		.amdhsa_inst_pref_size 12
		.amdhsa_round_robin_scheduling 0
		.amdhsa_exception_fp_ieee_invalid_op 0
		.amdhsa_exception_fp_denorm_src 0
		.amdhsa_exception_fp_ieee_div_zero 0
		.amdhsa_exception_fp_ieee_overflow 0
		.amdhsa_exception_fp_ieee_underflow 0
		.amdhsa_exception_fp_ieee_inexact 0
		.amdhsa_exception_int_div_zero 0
	.end_amdhsa_kernel
	.text
.Lfunc_end4:
	.size	naive_conv_ab_packed_fwd_nchw_ushort_double_ushort, .Lfunc_end4-naive_conv_ab_packed_fwd_nchw_ushort_double_ushort
                                        ; -- End function
	.set naive_conv_ab_packed_fwd_nchw_ushort_double_ushort.num_vgpr, 16
	.set naive_conv_ab_packed_fwd_nchw_ushort_double_ushort.num_agpr, 0
	.set naive_conv_ab_packed_fwd_nchw_ushort_double_ushort.numbered_sgpr, 55
	.set naive_conv_ab_packed_fwd_nchw_ushort_double_ushort.num_named_barrier, 0
	.set naive_conv_ab_packed_fwd_nchw_ushort_double_ushort.private_seg_size, 0
	.set naive_conv_ab_packed_fwd_nchw_ushort_double_ushort.uses_vcc, 1
	.set naive_conv_ab_packed_fwd_nchw_ushort_double_ushort.uses_flat_scratch, 0
	.set naive_conv_ab_packed_fwd_nchw_ushort_double_ushort.has_dyn_sized_stack, 0
	.set naive_conv_ab_packed_fwd_nchw_ushort_double_ushort.has_recursion, 0
	.set naive_conv_ab_packed_fwd_nchw_ushort_double_ushort.has_indirect_call, 0
	.section	.AMDGPU.csdata,"",@progbits
; Kernel info:
; codeLenInByte = 1492
; TotalNumSgprs: 57
; NumVgprs: 16
; ScratchSize: 0
; MemoryBound: 0
; FloatMode: 240
; IeeeMode: 1
; LDSByteSize: 0 bytes/workgroup (compile time only)
; SGPRBlocks: 0
; VGPRBlocks: 0
; NumSGPRsForWavesPerEU: 57
; NumVGPRsForWavesPerEU: 16
; NamedBarCnt: 0
; Occupancy: 16
; WaveLimiterHint : 0
; COMPUTE_PGM_RSRC2:SCRATCH_EN: 0
; COMPUTE_PGM_RSRC2:USER_SGPR: 2
; COMPUTE_PGM_RSRC2:TRAP_HANDLER: 0
; COMPUTE_PGM_RSRC2:TGID_X_EN: 1
; COMPUTE_PGM_RSRC2:TGID_Y_EN: 0
; COMPUTE_PGM_RSRC2:TGID_Z_EN: 0
; COMPUTE_PGM_RSRC2:TIDIG_COMP_CNT: 0
	.text
	.protected	naive_conv_ab_nonpacked_fwd_nchw_ushort_double_ushort ; -- Begin function naive_conv_ab_nonpacked_fwd_nchw_ushort_double_ushort
	.globl	naive_conv_ab_nonpacked_fwd_nchw_ushort_double_ushort
	.p2align	8
	.type	naive_conv_ab_nonpacked_fwd_nchw_ushort_double_ushort,@function
naive_conv_ab_nonpacked_fwd_nchw_ushort_double_ushort: ; @naive_conv_ab_nonpacked_fwd_nchw_ushort_double_ushort
; %bb.0:
	s_load_b256 s[20:27], s[0:1], 0xa0
	s_bfe_u32 s2, ttmp6, 0x4000c
	s_and_b32 s3, ttmp6, 15
	s_add_co_i32 s2, s2, 1
	s_getreg_b32 s4, hwreg(HW_REG_IB_STS2, 6, 4)
	s_mul_i32 s2, ttmp9, s2
	s_mov_b32 s10, exec_lo
	s_add_co_i32 s3, s3, s2
	s_cmp_eq_u32 s4, 0
	s_cselect_b32 s4, ttmp9, s3
	s_wait_kmcnt 0x0
	s_abs_i32 s3, s23
	s_mul_i32 s25, s26, s25
	s_cvt_f32_u32 s2, s3
	s_delay_alu instid0(SALU_CYCLE_3) | instskip(SKIP_1) | instid1(TRANS32_DEP_1)
	v_rcp_iflag_f32_e32 v1, s2
	v_nop
	v_readfirstlane_b32 s2, v1
	s_mul_f32 s2, s2, 0x4f7ffffe
	s_delay_alu instid0(SALU_CYCLE_3) | instskip(SKIP_1) | instid1(SALU_CYCLE_2)
	s_cvt_u32_f32 s5, s2
	s_sub_co_i32 s2, 0, s3
	s_mul_i32 s2, s2, s5
	s_delay_alu instid0(SALU_CYCLE_1) | instskip(SKIP_2) | instid1(SALU_CYCLE_1)
	s_mul_hi_u32 s6, s5, s2
	s_abs_i32 s2, s4
	s_add_co_i32 s5, s5, s6
	s_mul_hi_u32 s5, s2, s5
	s_delay_alu instid0(SALU_CYCLE_1) | instskip(SKIP_2) | instid1(SALU_CYCLE_1)
	s_mul_i32 s6, s5, s3
	s_add_co_i32 s7, s5, 1
	s_sub_co_i32 s6, s2, s6
	s_sub_co_i32 s8, s6, s3
	s_cmp_ge_u32 s6, s3
	s_cselect_b32 s5, s7, s5
	s_cselect_b32 s6, s8, s6
	s_add_co_i32 s7, s5, 1
	s_cmp_ge_u32 s6, s3
	s_mul_i32 s6, s23, s22
	s_cselect_b32 s8, s7, s5
	s_abs_i32 s5, s22
	s_abs_i32 s22, s6
	s_cvt_f32_u32 s3, s5
	s_cvt_f32_u32 s7, s22
	s_delay_alu instid0(SALU_CYCLE_2) | instskip(NEXT) | instid1(SALU_CYCLE_2)
	v_rcp_iflag_f32_e32 v1, s3
	v_rcp_iflag_f32_e32 v2, s7
	s_mov_b32 s3, 0
	s_delay_alu instid0(TRANS32_DEP_2) | instskip(NEXT) | instid1(TRANS32_DEP_1)
	v_readfirstlane_b32 s9, v1
	v_readfirstlane_b32 s7, v2
	v_cmpx_gt_i32_e64 s25, v0
	s_cbranch_execz .LBB5_19
; %bb.1:
	s_ashr_i32 s33, s4, 31
	s_ashr_i32 s10, s23, 31
	s_mul_f32 s9, s9, 0x4f7ffffe
	s_xor_b32 s10, s33, s10
	s_mul_f32 s7, s7, 0x4f7ffffe
	s_xor_b32 s8, s8, s10
	s_cvt_u32_f32 s9, s9
	s_sub_co_i32 s12, s8, s10
	s_sub_co_i32 s8, 0, s5
	s_cvt_u32_f32 s7, s7
	s_mul_i32 s8, s8, s9
	s_sub_co_i32 s13, 0, s22
	s_mul_hi_u32 s10, s9, s8
	s_abs_i32 s8, s12
	s_add_co_i32 s10, s9, s10
	s_mov_b32 s9, s3
	s_mov_b32 s11, s3
	s_mul_i32 s13, s13, s7
	s_mul_u64 s[10:11], s[8:9], s[10:11]
	s_mul_hi_u32 s9, s7, s13
	s_ashr_i32 s38, s6, 31
	s_add_co_i32 s6, s7, s9
	s_mul_i32 s7, s11, s5
	s_ashr_i32 s35, s12, 31
	s_mul_i32 s12, s12, s23
	s_sub_co_i32 s7, s8, s7
	s_sub_co_i32 s34, s4, s12
	;; [unrolled: 1-line block ×3, first 2 shown]
	s_cmp_ge_u32 s7, s5
	s_clause 0x1
	s_load_b64 s[52:53], s[0:1], 0x98
	s_load_b128 s[28:31], s[0:1], 0x88
	s_cselect_b32 s4, s4, s7
	s_mov_b32 s7, s3
	s_sub_co_i32 s8, s4, s5
	s_cmp_ge_u32 s4, s5
	s_mul_u64 s[36:37], s[2:3], s[6:7]
	s_cselect_b32 s23, s8, s4
	s_load_b512 s[4:19], s[0:1], 0x28
	s_xor_b32 s23, s23, s35
	s_xor_b32 s33, s33, s38
	s_sub_co_i32 s54, s23, s35
	s_mul_i32 s23, s37, s22
	s_load_b256 s[44:51], s[0:1], 0xc0
	s_sub_co_i32 s2, s2, s23
	s_add_co_i32 s23, s37, 1
	s_sub_co_i32 s35, s2, s22
	s_cmp_ge_u32 s2, s22
	s_load_b64 s[64:65], s[0:1], 0x20
	s_cselect_b32 s23, s23, s37
	s_load_b256 s[36:43], s[0:1], 0x0
	s_cselect_b32 s2, s35, s2
	s_add_co_i32 s35, s23, 1
	s_cmp_ge_u32 s2, s22
	s_load_b32 s67, s[0:1], 0xec
	s_cselect_b32 s2, s35, s23
	s_ashr_i32 s55, s54, 31
	s_xor_b32 s2, s2, s33
	s_ashr_i32 s35, s34, 31
	s_sub_co_i32 s22, s2, s33
	s_wait_kmcnt 0x0
	s_mul_u64 s[12:13], s[12:13], s[54:55]
	s_ashr_i32 s23, s22, 31
	s_mul_u64 s[52:53], s[52:53], s[54:55]
	s_mul_u64 s[10:11], s[10:11], s[22:23]
	;; [unrolled: 1-line block ×4, first 2 shown]
	s_lshl_b64 s[12:13], s[12:13], 1
	s_lshl_b64 s[10:11], s[10:11], 1
	s_lshl_b64 s[62:63], s[52:53], 1
	s_lshl_b64 s[30:31], s[30:31], 1
	s_lshl_b64 s[28:29], s[28:29], 1
	s_cmp_gt_i32 s24, 0
	v_cmp_neq_f64_e64 s2, s[40:41], 1.0
	v_cmp_neq_f64_e64 s66, s[42:43], 0
	s_cselect_b32 s33, -1, 0
	s_cmp_gt_i32 s49, 0
	v_mov_b32_e32 v3, 0
	s_cselect_b32 s51, -1, 0
	s_cmp_gt_i32 s50, 0
	s_cselect_b32 s60, -1, 0
	s_abs_i32 s61, s26
	s_lshl_b64 s[18:19], s[18:19], 1
	s_cvt_f32_u32 s52, s61
	s_lshl_b64 s[16:17], s[16:17], 1
	s_lshl_b64 s[14:15], s[14:15], 1
	s_delay_alu instid0(SALU_CYCLE_1)
	v_rcp_iflag_f32_e32 v1, s52
	s_load_b256 s[52:59], s[0:1], 0x68
	s_wait_xcnt 0x0
	s_add_nc_u64 s[0:1], s[36:37], s[12:13]
	s_add_nc_u64 s[12:13], s[64:65], s[62:63]
	;; [unrolled: 1-line block ×4, first 2 shown]
	s_and_b32 s62, s67, 0xffff
	v_nop
	v_readfirstlane_b32 s68, v1
	s_add_nc_u64 s[12:13], s[12:13], s[28:29]
	s_ashr_i32 s63, s26, 31
	s_mul_f32 s36, s68, 0x4f7ffffe
	s_delay_alu instid0(SALU_CYCLE_3)
	s_cvt_u32_f32 s0, s36
	s_or_b32 s1, s2, s66
	s_sub_co_i32 s2, 0, s61
	s_wait_kmcnt 0x0
	s_mul_u64 s[28:29], s[52:53], s[34:35]
	s_mul_u64 s[22:23], s[54:55], s[22:23]
	s_mul_i32 s2, s2, s0
	s_lshl_b64 s[28:29], s[28:29], 1
	s_lshl_b64 s[30:31], s[22:23], 1
	s_mul_hi_u32 s2, s0, s2
	s_add_nc_u64 s[28:29], s[28:29], s[30:31]
	s_add_co_i32 s22, s0, s2
	s_mov_b32 s23, s3
	s_add_nc_u64 s[28:29], s[38:39], s[28:29]
	s_mov_b32 s52, 0
	s_branch .LBB5_3
.LBB5_2:                                ;   in Loop: Header=BB5_3 Depth=1
	v_add_nc_u32_e32 v0, s62, v0
	s_delay_alu instid0(VALU_DEP_1)
	v_cmp_le_i32_e32 vcc_lo, s25, v0
	s_or_b32 s52, vcc_lo, s52
	s_wait_xcnt 0x0
	s_and_not1_b32 exec_lo, exec_lo, s52
	s_cbranch_execz .LBB5_19
.LBB5_3:                                ; =>This Loop Header: Depth=1
                                        ;     Child Loop BB5_6 Depth 2
                                        ;       Child Loop BB5_9 Depth 3
                                        ;         Child Loop BB5_12 Depth 4
	v_sub_nc_u32_e32 v1, 0, v0
	s_delay_alu instid0(VALU_DEP_1) | instskip(NEXT) | instid1(VALU_DEP_1)
	v_max_i32_e32 v2, v0, v1
	v_mul_u64_e32 v[4:5], s[22:23], v[2:3]
	s_delay_alu instid0(VALU_DEP_1) | instskip(NEXT) | instid1(VALU_DEP_1)
	v_mul_lo_u32 v1, v5, s61
	v_sub_nc_u32_e32 v1, v2, v1
	v_add_nc_u32_e32 v2, 1, v5
	s_delay_alu instid0(VALU_DEP_2) | instskip(NEXT) | instid1(VALU_DEP_2)
	v_cmp_le_u32_e32 vcc_lo, s61, v1
	v_cndmask_b32_e32 v2, v5, v2, vcc_lo
	v_subrev_nc_u32_e32 v4, s61, v1
	v_ashrrev_i32_e32 v5, 31, v0
	s_delay_alu instid0(VALU_DEP_2) | instskip(NEXT) | instid1(VALU_DEP_1)
	v_dual_cndmask_b32 v1, v1, v4 :: v_dual_add_nc_u32 v4, 1, v2
	v_cmp_le_u32_e32 vcc_lo, s61, v1
	s_delay_alu instid0(VALU_DEP_2) | instskip(SKIP_1) | instid1(VALU_DEP_1)
	v_dual_cndmask_b32 v1, v2, v4, vcc_lo :: v_dual_bitop2_b32 v5, s63, v5 bitop3:0x14
	s_and_not1_b32 vcc_lo, exec_lo, s33
	v_xor_b32_e32 v1, v1, v5
	s_delay_alu instid0(VALU_DEP_1) | instskip(NEXT) | instid1(VALU_DEP_1)
	v_sub_nc_u32_e32 v6, v1, v5
	v_mul_lo_u32 v1, v6, s26
	s_delay_alu instid0(VALU_DEP_1)
	v_sub_nc_u32_e32 v1, v0, v1
	s_cbranch_vccnz .LBB5_14
; %bb.4:                                ;   in Loop: Header=BB5_3 Depth=1
	v_mul_lo_u32 v2, v6, s27
	s_delay_alu instid0(VALU_DEP_2) | instskip(SKIP_3) | instid1(VALU_DEP_3)
	v_mul_lo_u32 v8, v1, s44
	v_mov_b64_e32 v[4:5], 0
	s_mov_b32 s2, 0
	s_mov_b64 s[30:31], s[28:29]
	v_subrev_nc_u32_e32 v7, s47, v2
	s_delay_alu instid0(VALU_DEP_3)
	v_subrev_nc_u32_e32 v10, s48, v8
	s_branch .LBB5_6
.LBB5_5:                                ;   in Loop: Header=BB5_6 Depth=2
	s_add_co_i32 s2, s2, 1
	s_add_nc_u64 s[30:31], s[30:31], s[18:19]
	s_cmp_eq_u32 s2, s24
	s_cbranch_scc1 .LBB5_15
.LBB5_6:                                ;   Parent Loop BB5_3 Depth=1
                                        ; =>  This Loop Header: Depth=2
                                        ;       Child Loop BB5_9 Depth 3
                                        ;         Child Loop BB5_12 Depth 4
	s_and_not1_b32 vcc_lo, exec_lo, s51
	s_cbranch_vccnz .LBB5_5
; %bb.7:                                ;   in Loop: Header=BB5_6 Depth=2
	s_mul_u64 s[34:35], s[8:9], s[2:3]
	s_mov_b32 s53, 0
	s_lshl_b64 s[34:35], s[34:35], 1
	s_mov_b64 s[36:37], s[30:31]
	s_add_nc_u64 s[34:35], s[10:11], s[34:35]
	s_branch .LBB5_9
.LBB5_8:                                ;   in Loop: Header=BB5_9 Depth=3
	s_add_co_i32 s53, s53, 1
	s_add_nc_u64 s[36:37], s[36:37], s[16:17]
	s_cmp_eq_u32 s53, s49
	s_cbranch_scc1 .LBB5_5
.LBB5_9:                                ;   Parent Loop BB5_3 Depth=1
                                        ;     Parent Loop BB5_6 Depth=2
                                        ; =>    This Loop Header: Depth=3
                                        ;         Child Loop BB5_12 Depth 4
	s_and_not1_b32 vcc_lo, exec_lo, s60
	s_cbranch_vccnz .LBB5_8
; %bb.10:                               ;   in Loop: Header=BB5_9 Depth=3
	v_mad_u32 v2, s53, s45, v7
	s_mov_b64 s[38:39], s[36:37]
	s_mov_b32 s55, s50
	s_delay_alu instid0(VALU_DEP_1)
	v_mul_u64_e32 v[8:9], s[6:7], v[2:3]
	v_cmp_gt_i32_e32 vcc_lo, 0, v2
	v_cmp_le_i32_e64 s0, s20, v2
	v_mov_b32_e32 v2, v10
	s_or_b32 s54, vcc_lo, s0
	v_lshl_add_u64 v[8:9], v[8:9], 1, s[34:35]
	s_branch .LBB5_12
.LBB5_11:                               ;   in Loop: Header=BB5_12 Depth=4
	s_or_b32 exec_lo, exec_lo, s0
	v_add_nc_u32_e32 v2, s46, v2
	s_add_co_i32 s55, s55, -1
	s_add_nc_u64 s[38:39], s[38:39], s[14:15]
	s_cmp_eq_u32 s55, 0
	s_cbranch_scc1 .LBB5_8
.LBB5_12:                               ;   Parent Loop BB5_3 Depth=1
                                        ;     Parent Loop BB5_6 Depth=2
                                        ;       Parent Loop BB5_9 Depth=3
                                        ; =>      This Inner Loop Header: Depth=4
	s_delay_alu instid0(VALU_DEP_2) | instskip(SKIP_2) | instid1(SALU_CYCLE_1)
	v_cmp_gt_i32_e32 vcc_lo, 0, v2
	v_cmp_le_i32_e64 s0, s21, v2
	s_or_b32 s0, vcc_lo, s0
	s_nor_b32 s64, s54, s0
	s_delay_alu instid0(SALU_CYCLE_1)
	s_and_saveexec_b32 s0, s64
	s_cbranch_execz .LBB5_11
; %bb.13:                               ;   in Loop: Header=BB5_12 Depth=4
	v_mul_u64_e32 v[12:13], s[4:5], v[2:3]
	s_load_u16 s64, s[38:39], 0x0
	s_wait_kmcnt 0x0
	s_lshl_b32 s64, s64, 16
	s_delay_alu instid0(VALU_DEP_1)
	v_lshl_add_u64 v[12:13], v[12:13], 1, v[8:9]
	global_load_u16 v11, v[12:13], off
	s_wait_xcnt 0x0
	v_cvt_f64_f32_e32 v[12:13], s64
	s_wait_loadcnt 0x0
	v_lshlrev_b32_e32 v11, 16, v11
	s_delay_alu instid0(VALU_DEP_1) | instskip(NEXT) | instid1(VALU_DEP_1)
	v_cvt_f64_f32_e32 v[14:15], v11
	v_fmac_f64_e32 v[4:5], v[14:15], v[12:13]
	s_branch .LBB5_11
.LBB5_14:                               ;   in Loop: Header=BB5_3 Depth=1
	v_mov_b64_e32 v[4:5], 0
.LBB5_15:                               ;   in Loop: Header=BB5_3 Depth=1
	v_ashrrev_i32_e32 v7, 31, v6
	s_and_b32 vcc_lo, exec_lo, s1
	s_mov_b32 s0, -1
	s_delay_alu instid0(VALU_DEP_1) | instskip(NEXT) | instid1(VALU_DEP_1)
	v_mul_u64_e32 v[6:7], s[58:59], v[6:7]
	v_mad_nc_u64_u32 v[6:7], s56, v1, v[6:7]
	s_delay_alu instid0(VALU_DEP_1) | instskip(SKIP_1) | instid1(VALU_DEP_1)
	v_mad_u32 v2, s57, v1, v7
	v_ashrrev_i32_e32 v1, 31, v1
	v_mad_u32 v7, s56, v1, v2
	s_cbranch_vccz .LBB5_17
; %bb.16:                               ;   in Loop: Header=BB5_3 Depth=1
	s_delay_alu instid0(VALU_DEP_1) | instskip(SKIP_3) | instid1(VALU_DEP_1)
	v_lshl_add_u64 v[8:9], v[6:7], 1, s[12:13]
	global_load_u16 v1, v[8:9], off
	s_wait_loadcnt 0x0
	v_lshlrev_b32_e32 v1, 16, v1
	v_cvt_f64_f32_e32 v[10:11], v1
	s_delay_alu instid0(VALU_DEP_1) | instskip(NEXT) | instid1(VALU_DEP_1)
	v_mul_f64_e32 v[10:11], s[42:43], v[10:11]
	v_fmac_f64_e32 v[10:11], s[40:41], v[4:5]
	s_delay_alu instid0(VALU_DEP_1) | instskip(NEXT) | instid1(VALU_DEP_1)
	v_cvt_f32_f64_e32 v1, v[10:11]
	v_and_b32_e32 v2, 0x7f800000, v1
	v_and_b32_e32 v10, 0xffff, v1
	v_lshrrev_b32_e32 v1, 16, v1
	s_delay_alu instid0(VALU_DEP_3) | instskip(NEXT) | instid1(VALU_DEP_3)
	v_cmp_eq_u32_e32 vcc_lo, 0x7f800000, v2
	v_cmp_ne_u32_e64 s0, 0, v10
	s_and_b32 s0, vcc_lo, s0
	s_delay_alu instid0(SALU_CYCLE_1) | instskip(SKIP_1) | instid1(VALU_DEP_1)
	v_cndmask_b32_e64 v2, 0, 1, s0
	s_mov_b32 s0, 0
	v_or_b32_e32 v1, v1, v2
	global_store_b16 v[8:9], v1, off
.LBB5_17:                               ;   in Loop: Header=BB5_3 Depth=1
	s_and_not1_b32 vcc_lo, exec_lo, s0
	s_cbranch_vccnz .LBB5_2
; %bb.18:                               ;   in Loop: Header=BB5_3 Depth=1
	s_wait_xcnt 0x0
	v_cvt_f32_f64_e32 v1, v[4:5]
	s_delay_alu instid0(VALU_DEP_1) | instskip(SKIP_2) | instid1(VALU_DEP_3)
	v_and_b32_e32 v2, 0x7f800000, v1
	v_and_b32_e32 v4, 0xffff, v1
	v_lshrrev_b32_e32 v1, 16, v1
	v_cmp_eq_u32_e32 vcc_lo, 0x7f800000, v2
	s_delay_alu instid0(VALU_DEP_3) | instskip(SKIP_2) | instid1(SALU_CYCLE_1)
	v_cmp_ne_u32_e64 s0, 0, v4
	v_lshl_add_u64 v[4:5], v[6:7], 1, s[12:13]
	s_and_b32 s0, vcc_lo, s0
	v_cndmask_b32_e64 v2, 0, 1, s0
	s_delay_alu instid0(VALU_DEP_1)
	v_or_b32_e32 v1, v1, v2
	global_store_b16 v[4:5], v1, off
	s_branch .LBB5_2
.LBB5_19:
	s_endpgm
	.section	.rodata,"a",@progbits
	.p2align	6, 0x0
	.amdhsa_kernel naive_conv_ab_nonpacked_fwd_nchw_ushort_double_ushort
		.amdhsa_group_segment_fixed_size 0
		.amdhsa_private_segment_fixed_size 0
		.amdhsa_kernarg_size 480
		.amdhsa_user_sgpr_count 2
		.amdhsa_user_sgpr_dispatch_ptr 0
		.amdhsa_user_sgpr_queue_ptr 0
		.amdhsa_user_sgpr_kernarg_segment_ptr 1
		.amdhsa_user_sgpr_dispatch_id 0
		.amdhsa_user_sgpr_kernarg_preload_length 0
		.amdhsa_user_sgpr_kernarg_preload_offset 0
		.amdhsa_user_sgpr_private_segment_size 0
		.amdhsa_wavefront_size32 1
		.amdhsa_uses_dynamic_stack 0
		.amdhsa_enable_private_segment 0
		.amdhsa_system_sgpr_workgroup_id_x 1
		.amdhsa_system_sgpr_workgroup_id_y 0
		.amdhsa_system_sgpr_workgroup_id_z 0
		.amdhsa_system_sgpr_workgroup_info 0
		.amdhsa_system_vgpr_workitem_id 0
		.amdhsa_next_free_vgpr 16
		.amdhsa_next_free_sgpr 69
		.amdhsa_named_barrier_count 0
		.amdhsa_reserve_vcc 1
		.amdhsa_float_round_mode_32 0
		.amdhsa_float_round_mode_16_64 0
		.amdhsa_float_denorm_mode_32 3
		.amdhsa_float_denorm_mode_16_64 3
		.amdhsa_fp16_overflow 0
		.amdhsa_memory_ordered 1
		.amdhsa_forward_progress 1
		.amdhsa_inst_pref_size 12
		.amdhsa_round_robin_scheduling 0
		.amdhsa_exception_fp_ieee_invalid_op 0
		.amdhsa_exception_fp_denorm_src 0
		.amdhsa_exception_fp_ieee_div_zero 0
		.amdhsa_exception_fp_ieee_overflow 0
		.amdhsa_exception_fp_ieee_underflow 0
		.amdhsa_exception_fp_ieee_inexact 0
		.amdhsa_exception_int_div_zero 0
	.end_amdhsa_kernel
	.text
.Lfunc_end5:
	.size	naive_conv_ab_nonpacked_fwd_nchw_ushort_double_ushort, .Lfunc_end5-naive_conv_ab_nonpacked_fwd_nchw_ushort_double_ushort
                                        ; -- End function
	.set naive_conv_ab_nonpacked_fwd_nchw_ushort_double_ushort.num_vgpr, 16
	.set naive_conv_ab_nonpacked_fwd_nchw_ushort_double_ushort.num_agpr, 0
	.set naive_conv_ab_nonpacked_fwd_nchw_ushort_double_ushort.numbered_sgpr, 69
	.set naive_conv_ab_nonpacked_fwd_nchw_ushort_double_ushort.num_named_barrier, 0
	.set naive_conv_ab_nonpacked_fwd_nchw_ushort_double_ushort.private_seg_size, 0
	.set naive_conv_ab_nonpacked_fwd_nchw_ushort_double_ushort.uses_vcc, 1
	.set naive_conv_ab_nonpacked_fwd_nchw_ushort_double_ushort.uses_flat_scratch, 0
	.set naive_conv_ab_nonpacked_fwd_nchw_ushort_double_ushort.has_dyn_sized_stack, 0
	.set naive_conv_ab_nonpacked_fwd_nchw_ushort_double_ushort.has_recursion, 0
	.set naive_conv_ab_nonpacked_fwd_nchw_ushort_double_ushort.has_indirect_call, 0
	.section	.AMDGPU.csdata,"",@progbits
; Kernel info:
; codeLenInByte = 1516
; TotalNumSgprs: 71
; NumVgprs: 16
; ScratchSize: 0
; MemoryBound: 0
; FloatMode: 240
; IeeeMode: 1
; LDSByteSize: 0 bytes/workgroup (compile time only)
; SGPRBlocks: 0
; VGPRBlocks: 0
; NumSGPRsForWavesPerEU: 71
; NumVGPRsForWavesPerEU: 16
; NamedBarCnt: 0
; Occupancy: 16
; WaveLimiterHint : 0
; COMPUTE_PGM_RSRC2:SCRATCH_EN: 0
; COMPUTE_PGM_RSRC2:USER_SGPR: 2
; COMPUTE_PGM_RSRC2:TRAP_HANDLER: 0
; COMPUTE_PGM_RSRC2:TGID_X_EN: 1
; COMPUTE_PGM_RSRC2:TGID_Y_EN: 0
; COMPUTE_PGM_RSRC2:TGID_Z_EN: 0
; COMPUTE_PGM_RSRC2:TIDIG_COMP_CNT: 0
	.text
	.protected	naive_conv_ab_packed_fwd_nchw_int8_t_int32_t_int8_t ; -- Begin function naive_conv_ab_packed_fwd_nchw_int8_t_int32_t_int8_t
	.globl	naive_conv_ab_packed_fwd_nchw_int8_t_int32_t_int8_t
	.p2align	8
	.type	naive_conv_ab_packed_fwd_nchw_int8_t_int32_t_int8_t,@function
naive_conv_ab_packed_fwd_nchw_int8_t_int32_t_int8_t: ; @naive_conv_ab_packed_fwd_nchw_int8_t_int32_t_int8_t
; %bb.0:
	s_load_b512 s[4:19], s[0:1], 0xa0
	s_bfe_u32 s2, ttmp6, 0x4000c
	s_and_b32 s3, ttmp6, 15
	s_add_co_i32 s2, s2, 1
	s_getreg_b32 s20, hwreg(HW_REG_IB_STS2, 6, 4)
	s_mul_i32 s2, ttmp9, s2
	s_mov_b32 s26, exec_lo
	s_add_co_i32 s3, s3, s2
	s_cmp_eq_u32 s20, 0
	s_cselect_b32 s20, ttmp9, s3
	s_wait_kmcnt 0x0
	s_abs_i32 s3, s7
	s_mul_i32 s33, s10, s9
	s_cvt_f32_u32 s2, s3
	s_delay_alu instid0(SALU_CYCLE_3) | instskip(SKIP_1) | instid1(TRANS32_DEP_1)
	v_rcp_iflag_f32_e32 v1, s2
	v_nop
	v_readfirstlane_b32 s2, v1
	s_mul_f32 s2, s2, 0x4f7ffffe
	s_delay_alu instid0(SALU_CYCLE_3) | instskip(SKIP_1) | instid1(SALU_CYCLE_2)
	s_cvt_u32_f32 s21, s2
	s_sub_co_i32 s2, 0, s3
	s_mul_i32 s2, s2, s21
	s_delay_alu instid0(SALU_CYCLE_1) | instskip(SKIP_2) | instid1(SALU_CYCLE_1)
	s_mul_hi_u32 s22, s21, s2
	s_abs_i32 s2, s20
	s_add_co_i32 s21, s21, s22
	s_mul_hi_u32 s21, s2, s21
	s_delay_alu instid0(SALU_CYCLE_1) | instskip(SKIP_2) | instid1(SALU_CYCLE_1)
	s_mul_i32 s22, s21, s3
	s_add_co_i32 s23, s21, 1
	s_sub_co_i32 s22, s2, s22
	s_sub_co_i32 s24, s22, s3
	s_cmp_ge_u32 s22, s3
	s_cselect_b32 s21, s23, s21
	s_cselect_b32 s22, s24, s22
	s_add_co_i32 s23, s21, 1
	s_cmp_ge_u32 s22, s3
	s_mul_i32 s22, s7, s6
	s_cselect_b32 s24, s23, s21
	s_abs_i32 s21, s6
	s_abs_i32 s6, s22
	s_cvt_f32_u32 s3, s21
	s_cvt_f32_u32 s23, s6
	s_delay_alu instid0(SALU_CYCLE_2) | instskip(NEXT) | instid1(SALU_CYCLE_2)
	v_rcp_iflag_f32_e32 v1, s3
	v_rcp_iflag_f32_e32 v2, s23
	s_mov_b32 s3, 0
	s_delay_alu instid0(TRANS32_DEP_2) | instskip(NEXT) | instid1(TRANS32_DEP_1)
	v_readfirstlane_b32 s25, v1
	v_readfirstlane_b32 s23, v2
	v_cmpx_gt_i32_e64 s33, v0
	s_cbranch_execz .LBB6_16
; %bb.1:
	s_ashr_i32 s30, s20, 31
	s_ashr_i32 s39, s7, 31
	s_mul_f32 s25, s25, 0x4f7ffffe
	s_xor_b32 s26, s30, s39
	s_mul_f32 s23, s23, 0x4f7ffffe
	s_xor_b32 s24, s24, s26
	s_cvt_u32_f32 s25, s25
	s_sub_co_i32 s29, s24, s26
	s_sub_co_i32 s24, 0, s21
	s_cvt_u32_f32 s23, s23
	s_mul_i32 s24, s24, s25
	s_mov_b32 s27, s3
	s_mul_hi_u32 s26, s25, s24
	s_abs_i32 s24, s29
	s_add_co_i32 s26, s25, s26
	s_mov_b32 s25, s3
	s_sub_co_i32 s28, 0, s6
	s_mul_u64 s[26:27], s[24:25], s[26:27]
	s_mul_i32 s28, s28, s23
	s_ashr_i32 s34, s22, 31
	s_mul_i32 s22, s27, s21
	s_ashr_i32 s31, s29, 31
	s_mul_hi_u32 s25, s23, s28
	s_mul_i32 s29, s29, s7
	s_sub_co_i32 s22, s24, s22
	s_add_co_i32 s28, s23, s25
	s_sub_co_i32 s40, s20, s29
	s_sub_co_i32 s20, s22, s21
	s_cmp_ge_u32 s22, s21
	s_mul_i32 s50, s19, s7
	s_cselect_b32 s29, s20, s22
	s_clause 0x1
	s_load_b64 s[48:49], s[0:1], 0x20
	s_load_b32 s62, s[0:1], 0xec
	s_sub_co_i32 s35, s29, s21
	s_cmp_ge_u32 s29, s21
	s_load_b256 s[20:27], s[0:1], 0x0
	s_cselect_b32 s35, s35, s29
	s_mov_b32 s29, s3
	s_xor_b32 s35, s35, s31
	s_mul_u64 s[28:29], s[2:3], s[28:29]
	s_sub_co_i32 s42, s35, s31
	s_mul_i32 s28, s29, s6
	s_xor_b32 s30, s30, s34
	s_sub_co_i32 s2, s2, s28
	s_add_co_i32 s28, s29, 1
	s_sub_co_i32 s31, s2, s6
	s_cmp_ge_u32 s2, s6
	s_mov_b32 s38, s7
	s_cselect_b32 s28, s28, s29
	s_cselect_b32 s2, s31, s2
	s_add_co_i32 s29, s28, 1
	s_cmp_ge_u32 s2, s6
	s_mov_b32 s54, s9
	s_cselect_b32 s2, s29, s28
	s_mul_i32 s28, s19, s8
	s_xor_b32 s2, s2, s30
	s_ashr_i32 s43, s42, 31
	s_ashr_i32 s29, s28, 31
	s_sub_co_i32 s52, s2, s30
	s_mul_u64 s[46:47], s[42:43], s[28:29]
	s_ashr_i32 s29, s4, 31
	s_ashr_i32 s31, s5, 31
	s_mov_b32 s30, s5
	s_ashr_i32 s53, s52, 31
	s_ashr_i32 s5, s8, 31
	;; [unrolled: 1-line block ×8, first 2 shown]
	s_cmp_gt_i32 s8, 0
	s_mov_b32 s28, s4
	s_mov_b32 s4, s8
	s_cselect_b32 s44, -1, 0
	s_cmp_gt_i32 s17, 0
	s_mul_u64 s[56:57], s[52:53], s[4:5]
	s_cselect_b32 s45, -1, 0
	s_cmp_gt_i32 s18, 0
	s_wait_kmcnt 0x0
	v_cmp_neq_f64_e64 s60, s[24:25], 1.0
	v_cmp_neq_f64_e64 s61, s[26:27], 0
	s_add_nc_u64 s[56:57], s[56:57], s[46:47]
	s_cselect_b32 s46, -1, 0
	s_abs_i32 s47, s10
	v_cvt_i32_f64_e32 v1, s[24:25]
	v_cvt_i32_f64_e32 v8, s[26:27]
	s_cvt_f32_u32 s2, s47
	s_mul_u64 s[58:59], s[30:31], s[28:29]
	s_mul_u64 s[38:39], s[52:53], s[38:39]
	;; [unrolled: 1-line block ×3, first 2 shown]
	v_rcp_iflag_f32_e32 v2, s2
	s_add_nc_u64 s[6:7], s[20:21], s[0:1]
	s_add_nc_u64 s[24:25], s[38:39], s[40:41]
	s_mul_u64 s[0:1], s[42:43], s[50:51]
	s_mov_b32 s36, s10
	s_add_nc_u64 s[0:1], s[24:25], s[0:1]
	s_mul_u64 s[8:9], s[36:37], s[54:55]
	v_nop
	v_readfirstlane_b32 s2, v2
	s_mov_b32 s34, s17
	s_mul_u64 s[0:1], s[8:9], s[0:1]
	s_mul_u64 s[20:21], s[18:19], s[34:35]
	s_add_nc_u64 s[8:9], s[48:49], s[0:1]
	s_mul_f32 s2, s2, 0x4f7ffffe
	s_sub_co_i32 s0, 0, s47
	s_mul_u64 s[26:27], s[20:21], s[24:25]
	v_mov_b32_e32 v3, 0
	s_cvt_u32_f32 s2, s2
	s_mul_u64 s[26:27], s[26:27], s[4:5]
	s_and_b32 s1, s62, 0xffff
	s_mov_b32 s25, s3
	s_mul_i32 s0, s0, s2
	s_add_nc_u64 s[22:23], s[22:23], s[26:27]
	s_mul_hi_u32 s0, s2, s0
	s_or_b32 s5, s60, s61
	s_add_co_i32 s24, s2, s0
	s_mov_b32 s10, 0
	s_branch .LBB6_3
.LBB6_2:                                ;   in Loop: Header=BB6_3 Depth=1
	v_add_nc_u32_e32 v0, s1, v0
	global_store_b8 v[4:5], v9, off
	v_cmp_le_i32_e32 vcc_lo, s33, v0
	s_or_b32 s10, vcc_lo, s10
	s_wait_xcnt 0x0
	s_and_not1_b32 exec_lo, exec_lo, s10
	s_cbranch_execz .LBB6_16
.LBB6_3:                                ; =>This Loop Header: Depth=1
                                        ;     Child Loop BB6_6 Depth 2
                                        ;       Child Loop BB6_9 Depth 3
                                        ;         Child Loop BB6_12 Depth 4
	v_dual_mov_b32 v9, v3 :: v_dual_sub_nc_u32 v2, 0, v0
	s_delay_alu instid0(VALU_DEP_1) | instskip(NEXT) | instid1(VALU_DEP_1)
	v_max_i32_e32 v2, v0, v2
	v_mul_u64_e32 v[4:5], s[24:25], v[2:3]
	s_delay_alu instid0(VALU_DEP_1) | instskip(NEXT) | instid1(VALU_DEP_1)
	v_mul_lo_u32 v4, v5, s47
	v_dual_sub_nc_u32 v2, v2, v4 :: v_dual_add_nc_u32 v4, 1, v5
	s_delay_alu instid0(VALU_DEP_1) | instskip(SKIP_1) | instid1(VALU_DEP_3)
	v_subrev_nc_u32_e32 v6, s47, v2
	v_cmp_le_u32_e32 vcc_lo, s47, v2
	v_cndmask_b32_e32 v4, v5, v4, vcc_lo
	s_delay_alu instid0(VALU_DEP_3) | instskip(NEXT) | instid1(VALU_DEP_2)
	v_dual_cndmask_b32 v2, v2, v6 :: v_dual_ashrrev_i32 v5, 31, v0
	v_add_nc_u32_e32 v6, 1, v4
	s_delay_alu instid0(VALU_DEP_2) | instskip(NEXT) | instid1(VALU_DEP_2)
	v_cmp_le_u32_e32 vcc_lo, s47, v2
	v_dual_cndmask_b32 v2, v4, v6, vcc_lo :: v_dual_bitop2_b32 v5, s37, v5 bitop3:0x14
	s_and_not1_b32 vcc_lo, exec_lo, s44
	s_delay_alu instid0(VALU_DEP_1) | instskip(NEXT) | instid1(VALU_DEP_1)
	v_xor_b32_e32 v2, v2, v5
	v_sub_nc_u32_e32 v5, v2, v5
	s_delay_alu instid0(VALU_DEP_1) | instskip(NEXT) | instid1(VALU_DEP_1)
	v_mul_lo_u32 v2, v5, s36
	v_sub_nc_u32_e32 v4, v0, v2
	s_cbranch_vccnz .LBB6_14
; %bb.4:                                ;   in Loop: Header=BB6_3 Depth=1
	v_mul_lo_u32 v2, v5, s11
	s_delay_alu instid0(VALU_DEP_2) | instskip(SKIP_3) | instid1(VALU_DEP_3)
	v_mul_lo_u32 v6, v4, s12
	v_mov_b32_e32 v9, 0
	s_mov_b32 s2, 0
	s_mov_b64 s[26:27], s[22:23]
	v_subrev_nc_u32_e32 v10, s15, v2
	s_delay_alu instid0(VALU_DEP_3)
	v_subrev_nc_u32_e32 v11, s16, v6
	s_branch .LBB6_6
.LBB6_5:                                ;   in Loop: Header=BB6_6 Depth=2
	s_add_co_i32 s2, s2, 1
	s_add_nc_u64 s[26:27], s[26:27], s[20:21]
	s_cmp_eq_u32 s2, s4
	s_cbranch_scc1 .LBB6_14
.LBB6_6:                                ;   Parent Loop BB6_3 Depth=1
                                        ; =>  This Loop Header: Depth=2
                                        ;       Child Loop BB6_9 Depth 3
                                        ;         Child Loop BB6_12 Depth 4
	s_and_not1_b32 vcc_lo, exec_lo, s45
	s_cbranch_vccnz .LBB6_5
; %bb.7:                                ;   in Loop: Header=BB6_6 Depth=2
	s_mul_u64 s[38:39], s[2:3], s[28:29]
	s_mov_b32 s17, 0
	s_mov_b64 s[40:41], s[26:27]
	s_branch .LBB6_9
.LBB6_8:                                ;   in Loop: Header=BB6_9 Depth=3
	s_add_co_i32 s17, s17, 1
	s_add_nc_u64 s[40:41], s[40:41], s[18:19]
	s_cmp_eq_u32 s17, s34
	s_cbranch_scc1 .LBB6_5
.LBB6_9:                                ;   Parent Loop BB6_3 Depth=1
                                        ;     Parent Loop BB6_6 Depth=2
                                        ; =>    This Loop Header: Depth=3
                                        ;         Child Loop BB6_12 Depth 4
	s_and_not1_b32 vcc_lo, exec_lo, s46
	s_cbranch_vccnz .LBB6_8
; %bb.10:                               ;   in Loop: Header=BB6_9 Depth=3
	v_mad_u32 v2, s17, s13, v10
	s_mov_b64 s[42:43], s[40:41]
	s_mov_b32 s48, s18
	s_delay_alu instid0(VALU_DEP_1)
	v_add_nc_u64_e32 v[12:13], s[38:39], v[2:3]
	v_cmp_gt_i32_e32 vcc_lo, 0, v2
	v_cmp_le_i32_e64 s0, s28, v2
	v_mov_b32_e32 v2, v11
	s_or_b32 s35, vcc_lo, s0
	v_mad_nc_u64_u32 v[6:7], v12, s30, s[6:7]
	s_delay_alu instid0(VALU_DEP_1) | instskip(NEXT) | instid1(VALU_DEP_1)
	v_mad_u32 v7, v13, s30, v7
	v_mad_u32 v7, v12, s31, v7
	s_branch .LBB6_12
.LBB6_11:                               ;   in Loop: Header=BB6_12 Depth=4
	s_wait_xcnt 0x0
	s_or_b32 exec_lo, exec_lo, s0
	v_add_nc_u32_e32 v2, s14, v2
	s_add_co_i32 s48, s48, -1
	s_add_nc_u64 s[42:43], s[42:43], 1
	s_cmp_eq_u32 s48, 0
	s_cbranch_scc1 .LBB6_8
.LBB6_12:                               ;   Parent Loop BB6_3 Depth=1
                                        ;     Parent Loop BB6_6 Depth=2
                                        ;       Parent Loop BB6_9 Depth=3
                                        ; =>      This Inner Loop Header: Depth=4
	v_cmp_gt_i32_e32 vcc_lo, 0, v2
	v_cmp_le_i32_e64 s0, s30, v2
	s_or_b32 s0, vcc_lo, s0
	s_delay_alu instid0(SALU_CYCLE_1) | instskip(NEXT) | instid1(SALU_CYCLE_1)
	s_nor_b32 s49, s35, s0
	s_and_saveexec_b32 s0, s49
	s_cbranch_execz .LBB6_11
; %bb.13:                               ;   in Loop: Header=BB6_12 Depth=4
	v_add_nc_u64_e32 v[12:13], v[6:7], v[2:3]
	s_load_u8 s49, s[42:43], 0x0
	global_load_u8 v12, v[12:13], off
	s_wait_loadcnt 0x0
	s_wait_kmcnt 0x0
	v_mad_u32_u24 v9, s49, v12, v9
	s_branch .LBB6_11
.LBB6_14:                               ;   in Loop: Header=BB6_3 Depth=1
	v_mad_nc_i64_i32 v[6:7], v5, s36, s[8:9]
	s_delay_alu instid0(VALU_DEP_2) | instskip(SKIP_1) | instid1(VALU_DEP_1)
	v_ashrrev_i32_e32 v5, 31, v4
	s_and_not1_b32 vcc_lo, exec_lo, s5
	v_add_nc_u64_e32 v[4:5], v[6:7], v[4:5]
	s_cbranch_vccnz .LBB6_2
; %bb.15:                               ;   in Loop: Header=BB6_3 Depth=1
	global_load_u8 v2, v[4:5], off
	v_mul_lo_u32 v6, v9, v1
	s_wait_loadcnt 0x0
	s_delay_alu instid0(VALU_DEP_1)
	v_mad_u32 v9, v2, v8, v6
	s_branch .LBB6_2
.LBB6_16:
	s_endpgm
	.section	.rodata,"a",@progbits
	.p2align	6, 0x0
	.amdhsa_kernel naive_conv_ab_packed_fwd_nchw_int8_t_int32_t_int8_t
		.amdhsa_group_segment_fixed_size 0
		.amdhsa_private_segment_fixed_size 0
		.amdhsa_kernarg_size 480
		.amdhsa_user_sgpr_count 2
		.amdhsa_user_sgpr_dispatch_ptr 0
		.amdhsa_user_sgpr_queue_ptr 0
		.amdhsa_user_sgpr_kernarg_segment_ptr 1
		.amdhsa_user_sgpr_dispatch_id 0
		.amdhsa_user_sgpr_kernarg_preload_length 0
		.amdhsa_user_sgpr_kernarg_preload_offset 0
		.amdhsa_user_sgpr_private_segment_size 0
		.amdhsa_wavefront_size32 1
		.amdhsa_uses_dynamic_stack 0
		.amdhsa_enable_private_segment 0
		.amdhsa_system_sgpr_workgroup_id_x 1
		.amdhsa_system_sgpr_workgroup_id_y 0
		.amdhsa_system_sgpr_workgroup_id_z 0
		.amdhsa_system_sgpr_workgroup_info 0
		.amdhsa_system_vgpr_workitem_id 0
		.amdhsa_next_free_vgpr 14
		.amdhsa_next_free_sgpr 63
		.amdhsa_named_barrier_count 0
		.amdhsa_reserve_vcc 1
		.amdhsa_float_round_mode_32 0
		.amdhsa_float_round_mode_16_64 0
		.amdhsa_float_denorm_mode_32 3
		.amdhsa_float_denorm_mode_16_64 3
		.amdhsa_fp16_overflow 0
		.amdhsa_memory_ordered 1
		.amdhsa_forward_progress 1
		.amdhsa_inst_pref_size 10
		.amdhsa_round_robin_scheduling 0
		.amdhsa_exception_fp_ieee_invalid_op 0
		.amdhsa_exception_fp_denorm_src 0
		.amdhsa_exception_fp_ieee_div_zero 0
		.amdhsa_exception_fp_ieee_overflow 0
		.amdhsa_exception_fp_ieee_underflow 0
		.amdhsa_exception_fp_ieee_inexact 0
		.amdhsa_exception_int_div_zero 0
	.end_amdhsa_kernel
	.text
.Lfunc_end6:
	.size	naive_conv_ab_packed_fwd_nchw_int8_t_int32_t_int8_t, .Lfunc_end6-naive_conv_ab_packed_fwd_nchw_int8_t_int32_t_int8_t
                                        ; -- End function
	.set naive_conv_ab_packed_fwd_nchw_int8_t_int32_t_int8_t.num_vgpr, 14
	.set naive_conv_ab_packed_fwd_nchw_int8_t_int32_t_int8_t.num_agpr, 0
	.set naive_conv_ab_packed_fwd_nchw_int8_t_int32_t_int8_t.numbered_sgpr, 63
	.set naive_conv_ab_packed_fwd_nchw_int8_t_int32_t_int8_t.num_named_barrier, 0
	.set naive_conv_ab_packed_fwd_nchw_int8_t_int32_t_int8_t.private_seg_size, 0
	.set naive_conv_ab_packed_fwd_nchw_int8_t_int32_t_int8_t.uses_vcc, 1
	.set naive_conv_ab_packed_fwd_nchw_int8_t_int32_t_int8_t.uses_flat_scratch, 0
	.set naive_conv_ab_packed_fwd_nchw_int8_t_int32_t_int8_t.has_dyn_sized_stack, 0
	.set naive_conv_ab_packed_fwd_nchw_int8_t_int32_t_int8_t.has_recursion, 0
	.set naive_conv_ab_packed_fwd_nchw_int8_t_int32_t_int8_t.has_indirect_call, 0
	.section	.AMDGPU.csdata,"",@progbits
; Kernel info:
; codeLenInByte = 1276
; TotalNumSgprs: 65
; NumVgprs: 14
; ScratchSize: 0
; MemoryBound: 0
; FloatMode: 240
; IeeeMode: 1
; LDSByteSize: 0 bytes/workgroup (compile time only)
; SGPRBlocks: 0
; VGPRBlocks: 0
; NumSGPRsForWavesPerEU: 65
; NumVGPRsForWavesPerEU: 14
; NamedBarCnt: 0
; Occupancy: 16
; WaveLimiterHint : 0
; COMPUTE_PGM_RSRC2:SCRATCH_EN: 0
; COMPUTE_PGM_RSRC2:USER_SGPR: 2
; COMPUTE_PGM_RSRC2:TRAP_HANDLER: 0
; COMPUTE_PGM_RSRC2:TGID_X_EN: 1
; COMPUTE_PGM_RSRC2:TGID_Y_EN: 0
; COMPUTE_PGM_RSRC2:TGID_Z_EN: 0
; COMPUTE_PGM_RSRC2:TIDIG_COMP_CNT: 0
	.text
	.protected	naive_conv_ab_nonpacked_fwd_nchw_int8_t_int32_t_int8_t ; -- Begin function naive_conv_ab_nonpacked_fwd_nchw_int8_t_int32_t_int8_t
	.globl	naive_conv_ab_nonpacked_fwd_nchw_int8_t_int32_t_int8_t
	.p2align	8
	.type	naive_conv_ab_nonpacked_fwd_nchw_int8_t_int32_t_int8_t,@function
naive_conv_ab_nonpacked_fwd_nchw_int8_t_int32_t_int8_t: ; @naive_conv_ab_nonpacked_fwd_nchw_int8_t_int32_t_int8_t
; %bb.0:
	s_load_b256 s[20:27], s[0:1], 0xa0
	s_bfe_u32 s2, ttmp6, 0x4000c
	s_and_b32 s3, ttmp6, 15
	s_add_co_i32 s2, s2, 1
	s_getreg_b32 s4, hwreg(HW_REG_IB_STS2, 6, 4)
	s_mul_i32 s2, ttmp9, s2
	s_mov_b32 s11, exec_lo
	s_add_co_i32 s3, s3, s2
	s_cmp_eq_u32 s4, 0
	s_cselect_b32 s4, ttmp9, s3
	s_wait_kmcnt 0x0
	s_abs_i32 s3, s23
	s_mul_i32 s25, s26, s25
	s_cvt_f32_u32 s2, s3
	s_delay_alu instid0(SALU_CYCLE_3) | instskip(SKIP_1) | instid1(TRANS32_DEP_1)
	v_rcp_iflag_f32_e32 v1, s2
	v_nop
	v_readfirstlane_b32 s2, v1
	s_mul_f32 s2, s2, 0x4f7ffffe
	s_delay_alu instid0(SALU_CYCLE_3) | instskip(SKIP_1) | instid1(SALU_CYCLE_2)
	s_cvt_u32_f32 s5, s2
	s_sub_co_i32 s2, 0, s3
	s_mul_i32 s2, s2, s5
	s_delay_alu instid0(SALU_CYCLE_1) | instskip(SKIP_2) | instid1(SALU_CYCLE_1)
	s_mul_hi_u32 s6, s5, s2
	s_abs_i32 s2, s4
	s_add_co_i32 s5, s5, s6
	s_mul_hi_u32 s5, s2, s5
	s_delay_alu instid0(SALU_CYCLE_1) | instskip(SKIP_2) | instid1(SALU_CYCLE_1)
	s_mul_i32 s6, s5, s3
	s_add_co_i32 s7, s5, 1
	s_sub_co_i32 s6, s2, s6
	s_sub_co_i32 s8, s6, s3
	s_cmp_ge_u32 s6, s3
	s_cselect_b32 s5, s7, s5
	s_cselect_b32 s6, s8, s6
	s_add_co_i32 s8, s5, 1
	s_cmp_ge_u32 s6, s3
	s_mul_i32 s7, s23, s22
	s_cselect_b32 s9, s8, s5
	s_abs_i32 s6, s22
	s_abs_i32 s5, s7
	s_cvt_f32_u32 s3, s6
	s_cvt_f32_u32 s8, s5
	s_delay_alu instid0(SALU_CYCLE_2) | instskip(NEXT) | instid1(SALU_CYCLE_2)
	v_rcp_iflag_f32_e32 v1, s3
	v_rcp_iflag_f32_e32 v2, s8
	s_mov_b32 s3, 0
	s_delay_alu instid0(TRANS32_DEP_2) | instskip(NEXT) | instid1(TRANS32_DEP_1)
	v_readfirstlane_b32 s10, v1
	v_readfirstlane_b32 s8, v2
	v_cmpx_gt_i32_e64 s25, v0
	s_cbranch_execz .LBB7_16
; %bb.1:
	s_ashr_i32 s12, s4, 31
	s_ashr_i32 s11, s23, 31
	s_mul_f32 s10, s10, 0x4f7ffffe
	s_xor_b32 s11, s12, s11
	s_sub_co_i32 s16, 0, s5
	s_xor_b32 s9, s9, s11
	s_cvt_u32_f32 s10, s10
	s_sub_co_i32 s13, s9, s11
	s_sub_co_i32 s9, 0, s6
	s_mul_f32 s11, s8, 0x4f7ffffe
	s_mul_i32 s9, s9, s10
	s_abs_i32 s8, s13
	s_mul_hi_u32 s9, s10, s9
	s_cvt_u32_f32 s15, s11
	s_add_co_i32 s10, s10, s9
	s_mov_b32 s9, s3
	s_mov_b32 s11, s3
	s_mul_i32 s16, s16, s15
	s_mul_u64 s[10:11], s[8:9], s[10:11]
	s_mul_hi_u32 s9, s15, s16
	s_ashr_i32 s16, s7, 31
	s_mul_i32 s7, s11, s6
	s_ashr_i32 s14, s13, 31
	s_mul_i32 s13, s13, s23
	s_sub_co_i32 s7, s8, s7
	s_add_co_i32 s10, s15, s9
	s_sub_co_i32 s22, s4, s13
	s_sub_co_i32 s4, s7, s6
	s_cmp_ge_u32 s7, s6
	s_mov_b32 s11, s3
	s_cselect_b32 s4, s4, s7
	s_load_b256 s[36:43], s[0:1], 0xc0
	s_sub_co_i32 s7, s4, s6
	s_cmp_ge_u32 s4, s6
	s_load_b256 s[52:59], s[0:1], 0x0
	s_cselect_b32 s4, s7, s4
	s_mul_u64 s[6:7], s[2:3], s[10:11]
	s_xor_b32 s4, s4, s14
	s_xor_b32 s23, s12, s16
	s_sub_co_i32 s34, s4, s14
	s_mul_i32 s4, s7, s5
	s_clause 0x1
	s_load_b64 s[64:65], s[0:1], 0x98
	s_load_b128 s[28:31], s[0:1], 0x88
	s_sub_co_i32 s2, s2, s4
	s_add_co_i32 s4, s7, 1
	s_sub_co_i32 s6, s2, s5
	s_cmp_ge_u32 s2, s5
	s_load_b256 s[44:51], s[0:1], 0x68
	s_cselect_b32 s4, s4, s7
	s_cselect_b32 s2, s6, s2
	s_add_co_i32 s6, s4, 1
	s_cmp_ge_u32 s2, s5
	s_load_b64 s[66:67], s[0:1], 0x20
	s_cselect_b32 s2, s6, s4
	s_load_b512 s[4:19], s[0:1], 0x28
	s_xor_b32 s2, s2, s23
	s_ashr_i32 s35, s34, 31
	s_sub_co_i32 s62, s2, s23
	s_ashr_i32 s23, s22, 31
	s_ashr_i32 s63, s62, 31
	s_cmp_gt_i32 s24, 0
	s_wait_kmcnt 0x0
	v_cmp_neq_f64_e64 s68, s[56:57], 1.0
	s_cselect_b32 s33, -1, 0
	s_cmp_gt_i32 s41, 0
	v_cmp_neq_f64_e64 s69, s[58:59], 0
	s_cselect_b32 s43, -1, 0
	s_cmp_gt_i32 s42, 0
	v_cvt_i32_f64_e32 v1, s[56:57]
	s_cselect_b32 s60, -1, 0
	s_abs_i32 s61, s26
	v_cvt_i32_f64_e32 v6, s[58:59]
	s_cvt_f32_u32 s2, s61
	s_mul_u64 s[44:45], s[44:45], s[22:23]
	s_mul_u64 s[22:23], s[28:29], s[22:23]
	;; [unrolled: 1-line block ×3, first 2 shown]
	v_rcp_iflag_f32_e32 v2, s2
	s_load_b32 s2, s[0:1], 0xec
	s_wait_xcnt 0x0
	s_mul_u64 s[0:1], s[12:13], s[34:35]
	s_sub_co_i32 s29, 0, s61
	s_add_nc_u64 s[0:1], s[52:53], s[0:1]
	s_mul_u64 s[46:47], s[46:47], s[62:63]
	s_add_nc_u64 s[10:11], s[0:1], s[10:11]
	v_nop
	v_readfirstlane_b32 s12, v2
	s_mul_u64 s[0:1], s[64:65], s[34:35]
	v_mov_b32_e32 v3, 0
	s_add_nc_u64 s[0:1], s[66:67], s[0:1]
	s_ashr_i32 s52, s26, 31
	s_mul_f32 s34, s12, 0x4f7ffffe
	s_mul_u64 s[12:13], s[30:31], s[62:63]
	s_delay_alu instid0(SALU_CYCLE_1) | instskip(NEXT) | instid1(SALU_CYCLE_1)
	s_add_nc_u64 s[0:1], s[0:1], s[12:13]
	s_cvt_u32_f32 s28, s34
	s_add_nc_u64 s[12:13], s[0:1], s[22:23]
	s_mov_b32 s23, s3
	s_delay_alu instid0(SALU_CYCLE_1)
	s_mul_i32 s29, s29, s28
	s_wait_kmcnt 0x0
	s_and_b32 s1, s2, 0xffff
	s_mul_hi_u32 s0, s28, s29
	s_or_b32 s53, s68, s69
	s_add_co_i32 s22, s28, s0
	s_add_nc_u64 s[28:29], s[44:45], s[46:47]
	s_delay_alu instid0(SALU_CYCLE_1)
	s_add_nc_u64 s[28:29], s[54:55], s[28:29]
	s_mov_b32 s54, 0
	s_branch .LBB7_3
.LBB7_2:                                ;   in Loop: Header=BB7_3 Depth=1
	v_add_nc_u32_e32 v0, s1, v0
	global_store_b8 v[4:5], v2, off
	v_cmp_le_i32_e32 vcc_lo, s25, v0
	s_or_b32 s54, vcc_lo, s54
	s_wait_xcnt 0x0
	s_and_not1_b32 exec_lo, exec_lo, s54
	s_cbranch_execz .LBB7_16
.LBB7_3:                                ; =>This Loop Header: Depth=1
                                        ;     Child Loop BB7_6 Depth 2
                                        ;       Child Loop BB7_9 Depth 3
                                        ;         Child Loop BB7_12 Depth 4
	v_sub_nc_u32_e32 v2, 0, v0
	s_delay_alu instid0(VALU_DEP_1) | instskip(NEXT) | instid1(VALU_DEP_1)
	v_max_i32_e32 v2, v0, v2
	v_mul_u64_e32 v[4:5], s[22:23], v[2:3]
	s_delay_alu instid0(VALU_DEP_1) | instskip(NEXT) | instid1(VALU_DEP_1)
	v_mul_lo_u32 v4, v5, s61
	v_dual_sub_nc_u32 v2, v2, v4 :: v_dual_add_nc_u32 v4, 1, v5
	s_delay_alu instid0(VALU_DEP_1) | instskip(SKIP_1) | instid1(VALU_DEP_3)
	v_subrev_nc_u32_e32 v7, s61, v2
	v_cmp_le_u32_e32 vcc_lo, s61, v2
	v_cndmask_b32_e32 v4, v5, v4, vcc_lo
	s_delay_alu instid0(VALU_DEP_3) | instskip(NEXT) | instid1(VALU_DEP_2)
	v_dual_cndmask_b32 v2, v2, v7 :: v_dual_ashrrev_i32 v5, 31, v0
	v_add_nc_u32_e32 v7, 1, v4
	s_delay_alu instid0(VALU_DEP_2) | instskip(NEXT) | instid1(VALU_DEP_2)
	v_cmp_le_u32_e32 vcc_lo, s61, v2
	v_dual_cndmask_b32 v2, v4, v7, vcc_lo :: v_dual_bitop2_b32 v5, s52, v5 bitop3:0x14
	s_and_not1_b32 vcc_lo, exec_lo, s33
	s_delay_alu instid0(VALU_DEP_1) | instskip(NEXT) | instid1(VALU_DEP_1)
	v_xor_b32_e32 v2, v2, v5
	v_sub_nc_u32_e32 v7, v2, v5
	s_delay_alu instid0(VALU_DEP_1) | instskip(NEXT) | instid1(VALU_DEP_1)
	v_mul_lo_u32 v2, v7, s26
	v_dual_sub_nc_u32 v8, v0, v2 :: v_dual_mov_b32 v2, 0
	s_cbranch_vccnz .LBB7_14
; %bb.4:                                ;   in Loop: Header=BB7_3 Depth=1
	v_mul_lo_u32 v2, v7, s27
	s_delay_alu instid0(VALU_DEP_2) | instskip(SKIP_2) | instid1(VALU_DEP_2)
	v_mul_lo_u32 v4, v8, s36
	s_mov_b32 s2, 0
	s_mov_b64 s[30:31], s[28:29]
	v_subrev_nc_u32_e32 v9, s39, v2
	s_delay_alu instid0(VALU_DEP_2)
	v_subrev_nc_u32_e32 v10, s40, v4
	v_mov_b32_e32 v2, 0
	s_branch .LBB7_6
.LBB7_5:                                ;   in Loop: Header=BB7_6 Depth=2
	s_add_co_i32 s2, s2, 1
	s_add_nc_u64 s[30:31], s[30:31], s[18:19]
	s_cmp_eq_u32 s2, s24
	s_cbranch_scc1 .LBB7_14
.LBB7_6:                                ;   Parent Loop BB7_3 Depth=1
                                        ; =>  This Loop Header: Depth=2
                                        ;       Child Loop BB7_9 Depth 3
                                        ;         Child Loop BB7_12 Depth 4
	s_and_not1_b32 vcc_lo, exec_lo, s43
	s_cbranch_vccnz .LBB7_5
; %bb.7:                                ;   in Loop: Header=BB7_6 Depth=2
	s_mul_u64 s[34:35], s[8:9], s[2:3]
	s_mov_b32 s55, 0
	s_add_nc_u64 s[34:35], s[10:11], s[34:35]
	s_mov_b64 s[44:45], s[30:31]
	s_branch .LBB7_9
.LBB7_8:                                ;   in Loop: Header=BB7_9 Depth=3
	s_add_co_i32 s55, s55, 1
	s_add_nc_u64 s[44:45], s[44:45], s[16:17]
	s_cmp_eq_u32 s55, s41
	s_cbranch_scc1 .LBB7_5
.LBB7_9:                                ;   Parent Loop BB7_3 Depth=1
                                        ;     Parent Loop BB7_6 Depth=2
                                        ; =>    This Loop Header: Depth=3
                                        ;         Child Loop BB7_12 Depth 4
	s_and_not1_b32 vcc_lo, exec_lo, s60
	s_cbranch_vccnz .LBB7_8
; %bb.10:                               ;   in Loop: Header=BB7_9 Depth=3
	v_mad_u32 v11, s55, s37, v9
	s_mov_b64 s[46:47], s[44:45]
	s_mov_b32 s57, s42
	s_delay_alu instid0(VALU_DEP_1)
	v_mad_nc_u64_u32 v[4:5], s6, v11, s[34:35]
	v_cmp_gt_i32_e32 vcc_lo, 0, v11
	v_cmp_le_i32_e64 s0, s20, v11
	s_or_b32 s56, vcc_lo, s0
	v_mad_u32 v5, s7, v11, v5
	v_mov_b32_e32 v11, v10
	s_branch .LBB7_12
.LBB7_11:                               ;   in Loop: Header=BB7_12 Depth=4
	s_wait_xcnt 0x0
	s_or_b32 exec_lo, exec_lo, s0
	v_add_nc_u32_e32 v11, s38, v11
	s_add_co_i32 s57, s57, -1
	s_add_nc_u64 s[46:47], s[46:47], s[14:15]
	s_cmp_eq_u32 s57, 0
	s_cbranch_scc1 .LBB7_8
.LBB7_12:                               ;   Parent Loop BB7_3 Depth=1
                                        ;     Parent Loop BB7_6 Depth=2
                                        ;       Parent Loop BB7_9 Depth=3
                                        ; =>      This Inner Loop Header: Depth=4
	s_delay_alu instid0(VALU_DEP_1) | instskip(SKIP_2) | instid1(SALU_CYCLE_1)
	v_cmp_gt_i32_e32 vcc_lo, 0, v11
	v_cmp_le_i32_e64 s0, s21, v11
	s_or_b32 s0, vcc_lo, s0
	s_nor_b32 s58, s56, s0
	s_delay_alu instid0(SALU_CYCLE_1)
	s_and_saveexec_b32 s0, s58
	s_cbranch_execz .LBB7_11
; %bb.13:                               ;   in Loop: Header=BB7_12 Depth=4
	v_mad_nc_u64_u32 v[12:13], s4, v11, v[4:5]
	s_load_u8 s58, s[46:47], 0x0
	s_delay_alu instid0(VALU_DEP_1)
	v_mad_u32 v13, s5, v11, v13
	global_load_u8 v12, v[12:13], off
	s_wait_loadcnt 0x0
	s_wait_kmcnt 0x0
	v_mad_u32_u24 v2, s58, v12, v2
	s_branch .LBB7_11
.LBB7_14:                               ;   in Loop: Header=BB7_3 Depth=1
	s_delay_alu instid0(VALU_DEP_1) | instskip(SKIP_1) | instid1(VALU_DEP_1)
	v_mad_nc_u64_u32 v[4:5], s48, v8, s[12:13]
	s_and_not1_b32 vcc_lo, exec_lo, s53
	v_mad_u32 v5, s49, v8, v5
	v_ashrrev_i32_e32 v8, 31, v8
	s_delay_alu instid0(VALU_DEP_1) | instskip(NEXT) | instid1(VALU_DEP_1)
	v_mad_u32 v5, s48, v8, v5
	v_mad_nc_u64_u32 v[4:5], s50, v7, v[4:5]
	s_delay_alu instid0(VALU_DEP_1) | instskip(SKIP_1) | instid1(VALU_DEP_1)
	v_mad_u32 v5, s51, v7, v5
	v_ashrrev_i32_e32 v7, 31, v7
	v_mad_u32 v5, s50, v7, v5
	s_cbranch_vccnz .LBB7_2
; %bb.15:                               ;   in Loop: Header=BB7_3 Depth=1
	global_load_u8 v7, v[4:5], off
	v_mul_lo_u32 v2, v2, v1
	s_wait_loadcnt 0x0
	s_delay_alu instid0(VALU_DEP_1)
	v_mad_u32 v2, v7, v6, v2
	s_branch .LBB7_2
.LBB7_16:
	s_endpgm
	.section	.rodata,"a",@progbits
	.p2align	6, 0x0
	.amdhsa_kernel naive_conv_ab_nonpacked_fwd_nchw_int8_t_int32_t_int8_t
		.amdhsa_group_segment_fixed_size 0
		.amdhsa_private_segment_fixed_size 0
		.amdhsa_kernarg_size 480
		.amdhsa_user_sgpr_count 2
		.amdhsa_user_sgpr_dispatch_ptr 0
		.amdhsa_user_sgpr_queue_ptr 0
		.amdhsa_user_sgpr_kernarg_segment_ptr 1
		.amdhsa_user_sgpr_dispatch_id 0
		.amdhsa_user_sgpr_kernarg_preload_length 0
		.amdhsa_user_sgpr_kernarg_preload_offset 0
		.amdhsa_user_sgpr_private_segment_size 0
		.amdhsa_wavefront_size32 1
		.amdhsa_uses_dynamic_stack 0
		.amdhsa_enable_private_segment 0
		.amdhsa_system_sgpr_workgroup_id_x 1
		.amdhsa_system_sgpr_workgroup_id_y 0
		.amdhsa_system_sgpr_workgroup_id_z 0
		.amdhsa_system_sgpr_workgroup_info 0
		.amdhsa_system_vgpr_workitem_id 0
		.amdhsa_next_free_vgpr 14
		.amdhsa_next_free_sgpr 70
		.amdhsa_named_barrier_count 0
		.amdhsa_reserve_vcc 1
		.amdhsa_float_round_mode_32 0
		.amdhsa_float_round_mode_16_64 0
		.amdhsa_float_denorm_mode_32 3
		.amdhsa_float_denorm_mode_16_64 3
		.amdhsa_fp16_overflow 0
		.amdhsa_memory_ordered 1
		.amdhsa_forward_progress 1
		.amdhsa_inst_pref_size 11
		.amdhsa_round_robin_scheduling 0
		.amdhsa_exception_fp_ieee_invalid_op 0
		.amdhsa_exception_fp_denorm_src 0
		.amdhsa_exception_fp_ieee_div_zero 0
		.amdhsa_exception_fp_ieee_overflow 0
		.amdhsa_exception_fp_ieee_underflow 0
		.amdhsa_exception_fp_ieee_inexact 0
		.amdhsa_exception_int_div_zero 0
	.end_amdhsa_kernel
	.text
.Lfunc_end7:
	.size	naive_conv_ab_nonpacked_fwd_nchw_int8_t_int32_t_int8_t, .Lfunc_end7-naive_conv_ab_nonpacked_fwd_nchw_int8_t_int32_t_int8_t
                                        ; -- End function
	.set naive_conv_ab_nonpacked_fwd_nchw_int8_t_int32_t_int8_t.num_vgpr, 14
	.set naive_conv_ab_nonpacked_fwd_nchw_int8_t_int32_t_int8_t.num_agpr, 0
	.set naive_conv_ab_nonpacked_fwd_nchw_int8_t_int32_t_int8_t.numbered_sgpr, 70
	.set naive_conv_ab_nonpacked_fwd_nchw_int8_t_int32_t_int8_t.num_named_barrier, 0
	.set naive_conv_ab_nonpacked_fwd_nchw_int8_t_int32_t_int8_t.private_seg_size, 0
	.set naive_conv_ab_nonpacked_fwd_nchw_int8_t_int32_t_int8_t.uses_vcc, 1
	.set naive_conv_ab_nonpacked_fwd_nchw_int8_t_int32_t_int8_t.uses_flat_scratch, 0
	.set naive_conv_ab_nonpacked_fwd_nchw_int8_t_int32_t_int8_t.has_dyn_sized_stack, 0
	.set naive_conv_ab_nonpacked_fwd_nchw_int8_t_int32_t_int8_t.has_recursion, 0
	.set naive_conv_ab_nonpacked_fwd_nchw_int8_t_int32_t_int8_t.has_indirect_call, 0
	.section	.AMDGPU.csdata,"",@progbits
; Kernel info:
; codeLenInByte = 1316
; TotalNumSgprs: 72
; NumVgprs: 14
; ScratchSize: 0
; MemoryBound: 0
; FloatMode: 240
; IeeeMode: 1
; LDSByteSize: 0 bytes/workgroup (compile time only)
; SGPRBlocks: 0
; VGPRBlocks: 0
; NumSGPRsForWavesPerEU: 72
; NumVGPRsForWavesPerEU: 14
; NamedBarCnt: 0
; Occupancy: 16
; WaveLimiterHint : 0
; COMPUTE_PGM_RSRC2:SCRATCH_EN: 0
; COMPUTE_PGM_RSRC2:USER_SGPR: 2
; COMPUTE_PGM_RSRC2:TRAP_HANDLER: 0
; COMPUTE_PGM_RSRC2:TGID_X_EN: 1
; COMPUTE_PGM_RSRC2:TGID_Y_EN: 0
; COMPUTE_PGM_RSRC2:TGID_Z_EN: 0
; COMPUTE_PGM_RSRC2:TIDIG_COMP_CNT: 0
	.text
	.protected	naive_conv_ab_packed_fwd_nchw_int8_t_int32_t_int32_t ; -- Begin function naive_conv_ab_packed_fwd_nchw_int8_t_int32_t_int32_t
	.globl	naive_conv_ab_packed_fwd_nchw_int8_t_int32_t_int32_t
	.p2align	8
	.type	naive_conv_ab_packed_fwd_nchw_int8_t_int32_t_int32_t,@function
naive_conv_ab_packed_fwd_nchw_int8_t_int32_t_int32_t: ; @naive_conv_ab_packed_fwd_nchw_int8_t_int32_t_int32_t
; %bb.0:
	s_load_b512 s[4:19], s[0:1], 0xa0
	s_bfe_u32 s2, ttmp6, 0x4000c
	s_and_b32 s3, ttmp6, 15
	s_add_co_i32 s2, s2, 1
	s_getreg_b32 s20, hwreg(HW_REG_IB_STS2, 6, 4)
	s_mul_i32 s2, ttmp9, s2
	s_mov_b32 s26, exec_lo
	s_add_co_i32 s3, s3, s2
	s_cmp_eq_u32 s20, 0
	s_cselect_b32 s20, ttmp9, s3
	s_wait_kmcnt 0x0
	s_abs_i32 s3, s7
	s_mul_i32 s33, s10, s9
	s_cvt_f32_u32 s2, s3
	s_delay_alu instid0(SALU_CYCLE_3) | instskip(SKIP_1) | instid1(TRANS32_DEP_1)
	v_rcp_iflag_f32_e32 v1, s2
	v_nop
	v_readfirstlane_b32 s2, v1
	s_mul_f32 s2, s2, 0x4f7ffffe
	s_delay_alu instid0(SALU_CYCLE_3) | instskip(SKIP_1) | instid1(SALU_CYCLE_2)
	s_cvt_u32_f32 s21, s2
	s_sub_co_i32 s2, 0, s3
	s_mul_i32 s2, s2, s21
	s_delay_alu instid0(SALU_CYCLE_1) | instskip(SKIP_2) | instid1(SALU_CYCLE_1)
	s_mul_hi_u32 s22, s21, s2
	s_abs_i32 s2, s20
	s_add_co_i32 s21, s21, s22
	s_mul_hi_u32 s21, s2, s21
	s_delay_alu instid0(SALU_CYCLE_1) | instskip(SKIP_2) | instid1(SALU_CYCLE_1)
	s_mul_i32 s22, s21, s3
	s_add_co_i32 s23, s21, 1
	s_sub_co_i32 s22, s2, s22
	s_sub_co_i32 s24, s22, s3
	s_cmp_ge_u32 s22, s3
	s_cselect_b32 s21, s23, s21
	s_cselect_b32 s22, s24, s22
	s_add_co_i32 s23, s21, 1
	s_cmp_ge_u32 s22, s3
	s_mul_i32 s22, s7, s6
	s_cselect_b32 s24, s23, s21
	s_abs_i32 s21, s6
	s_abs_i32 s6, s22
	s_cvt_f32_u32 s3, s21
	s_cvt_f32_u32 s23, s6
	s_delay_alu instid0(SALU_CYCLE_2) | instskip(NEXT) | instid1(SALU_CYCLE_2)
	v_rcp_iflag_f32_e32 v1, s3
	v_rcp_iflag_f32_e32 v2, s23
	s_mov_b32 s3, 0
	s_delay_alu instid0(TRANS32_DEP_2) | instskip(NEXT) | instid1(TRANS32_DEP_1)
	v_readfirstlane_b32 s25, v1
	v_readfirstlane_b32 s23, v2
	v_cmpx_gt_i32_e64 s33, v0
	s_cbranch_execz .LBB8_18
; %bb.1:
	s_ashr_i32 s28, s20, 31
	s_ashr_i32 s35, s7, 31
	s_mul_f32 s25, s25, 0x4f7ffffe
	s_xor_b32 s26, s28, s35
	s_mul_f32 s23, s23, 0x4f7ffffe
	s_xor_b32 s24, s24, s26
	s_cvt_u32_f32 s25, s25
	s_sub_co_i32 s29, s24, s26
	s_sub_co_i32 s24, 0, s21
	s_cvt_u32_f32 s23, s23
	s_mul_i32 s24, s24, s25
	s_sub_co_i32 s31, 0, s6
	s_mul_hi_u32 s26, s25, s24
	s_abs_i32 s24, s29
	s_add_co_i32 s26, s25, s26
	s_mov_b32 s25, s3
	s_mov_b32 s27, s3
	s_mul_i32 s31, s31, s23
	s_mul_u64 s[26:27], s[24:25], s[26:27]
	s_mul_hi_u32 s25, s23, s31
	s_ashr_i32 s26, s22, 31
	s_add_co_i32 s22, s23, s25
	s_mul_i32 s23, s27, s21
	s_ashr_i32 s30, s29, 31
	s_mul_i32 s29, s29, s7
	s_sub_co_i32 s23, s24, s23
	s_sub_co_i32 s36, s20, s29
	;; [unrolled: 1-line block ×3, first 2 shown]
	s_cmp_ge_u32 s23, s21
	s_mul_i32 s40, s19, s7
	s_cselect_b32 s20, s20, s23
	s_mov_b32 s34, s7
	s_sub_co_i32 s23, s20, s21
	s_cmp_ge_u32 s20, s21
	s_mov_b32 s44, s9
	s_cselect_b32 s20, s23, s20
	s_mov_b32 s23, s3
	s_xor_b32 s24, s20, s30
	s_mul_u64 s[20:21], s[2:3], s[22:23]
	s_sub_co_i32 s38, s24, s30
	s_mul_i32 s20, s21, s6
	s_xor_b32 s28, s28, s26
	s_sub_co_i32 s2, s2, s20
	s_add_co_i32 s20, s21, 1
	s_sub_co_i32 s22, s2, s6
	s_cmp_ge_u32 s2, s6
	s_mul_i32 s42, s19, s8
	s_cselect_b32 s29, s20, s21
	s_cselect_b32 s2, s22, s2
	s_load_b256 s[20:27], s[0:1], 0x0
	s_add_co_i32 s30, s29, 1
	s_cmp_ge_u32 s2, s6
	s_load_b64 s[50:51], s[0:1], 0x20
	s_cselect_b32 s2, s30, s29
	s_ashr_i32 s39, s38, 31
	s_xor_b32 s2, s2, s28
	s_ashr_i32 s37, s36, 31
	s_sub_co_i32 s48, s2, s28
	s_ashr_i32 s41, s40, 31
	s_ashr_i32 s49, s48, 31
	s_mul_u64 s[40:41], s[38:39], s[40:41]
	s_mul_u64 s[34:35], s[48:49], s[34:35]
	s_ashr_i32 s45, s9, 31
	s_add_nc_u64 s[36:37], s[34:35], s[36:37]
	s_ashr_i32 s35, s10, 31
	s_mov_b32 s34, s10
	s_add_nc_u64 s[40:41], s[36:37], s[40:41]
	s_mul_u64 s[44:45], s[34:35], s[44:45]
	s_ashr_i32 s43, s42, 31
	s_mul_u64 s[40:41], s[44:45], s[40:41]
	s_wait_kmcnt 0x0
	v_cmp_neq_f64_e64 s2, s[24:25], 1.0
	v_cmp_neq_f64_e64 s47, s[26:27], 0
	s_ashr_i32 s29, s4, 31
	s_ashr_i32 s31, s5, 31
	s_ashr_i32 s7, s8, 31
	s_ashr_i32 s9, s17, 31
	s_ashr_i32 s19, s18, 31
	s_lshl_b64 s[40:41], s[40:41], 2
	s_cmp_gt_i32 s8, 0
	v_cvt_i32_f64_e32 v1, s[24:25]
	s_cselect_b32 s44, -1, 0
	s_cmp_gt_i32 s17, 0
	v_cvt_i32_f64_e32 v8, s[26:27]
	s_cselect_b32 s45, -1, 0
	s_cmp_gt_i32 s18, 0
	s_mul_u64 s[38:39], s[38:39], s[42:43]
	s_cselect_b32 s46, -1, 0
	s_abs_i32 s10, s10
	s_load_b32 s42, s[0:1], 0xec
	s_cvt_f32_u32 s6, s10
	s_mov_b32 s28, s4
	s_mov_b32 s30, s5
	v_mov_b32_e32 v3, 0
	v_rcp_iflag_f32_e32 v2, s6
	s_mov_b32 s6, s8
	s_mul_u64 s[4:5], s[30:31], s[28:29]
	s_wait_xcnt 0x0
	s_mul_u64 s[0:1], s[48:49], s[6:7]
	s_mov_b32 s27, s3
	s_add_nc_u64 s[0:1], s[0:1], s[38:39]
	v_nop
	v_readfirstlane_b32 s8, v2
	s_mul_u64 s[0:1], s[4:5], s[0:1]
	s_delay_alu instid0(SALU_CYCLE_1)
	s_add_nc_u64 s[4:5], s[20:21], s[0:1]
	s_or_b32 s1, s2, s47
	s_mul_f32 s24, s8, 0x4f7ffffe
	s_mov_b32 s8, s17
	s_sub_co_i32 s2, 0, s10
	s_add_nc_u64 s[20:21], s[50:51], s[40:41]
	s_cvt_u32_f32 s0, s24
	s_mul_u64 s[24:25], s[18:19], s[8:9]
	s_wait_kmcnt 0x0
	s_and_b32 s17, s42, 0xffff
	s_mul_u64 s[36:37], s[24:25], s[36:37]
	s_mul_i32 s2, s2, s0
	s_mul_u64 s[36:37], s[36:37], s[6:7]
	s_mul_hi_u32 s2, s0, s2
	s_add_nc_u64 s[22:23], s[22:23], s[36:37]
	s_add_co_i32 s26, s0, s2
	s_mov_b32 s7, 0
	s_branch .LBB8_3
.LBB8_2:                                ;   in Loop: Header=BB8_3 Depth=1
	v_add_nc_u32_e32 v0, s17, v0
	s_delay_alu instid0(VALU_DEP_1)
	v_cmp_le_i32_e32 vcc_lo, s33, v0
	s_or_b32 s7, vcc_lo, s7
	s_wait_xcnt 0x0
	s_and_not1_b32 exec_lo, exec_lo, s7
	s_cbranch_execz .LBB8_18
.LBB8_3:                                ; =>This Loop Header: Depth=1
                                        ;     Child Loop BB8_6 Depth 2
                                        ;       Child Loop BB8_9 Depth 3
                                        ;         Child Loop BB8_12 Depth 4
	v_dual_mov_b32 v9, v3 :: v_dual_sub_nc_u32 v2, 0, v0
	s_delay_alu instid0(VALU_DEP_1) | instskip(NEXT) | instid1(VALU_DEP_1)
	v_max_i32_e32 v2, v0, v2
	v_mul_u64_e32 v[4:5], s[26:27], v[2:3]
	s_delay_alu instid0(VALU_DEP_1) | instskip(NEXT) | instid1(VALU_DEP_1)
	v_mul_lo_u32 v4, v5, s10
	v_dual_sub_nc_u32 v2, v2, v4 :: v_dual_add_nc_u32 v4, 1, v5
	s_delay_alu instid0(VALU_DEP_1) | instskip(SKIP_1) | instid1(VALU_DEP_3)
	v_subrev_nc_u32_e32 v6, s10, v2
	v_cmp_le_u32_e32 vcc_lo, s10, v2
	v_cndmask_b32_e32 v4, v5, v4, vcc_lo
	s_delay_alu instid0(VALU_DEP_3) | instskip(NEXT) | instid1(VALU_DEP_2)
	v_dual_cndmask_b32 v2, v2, v6 :: v_dual_ashrrev_i32 v5, 31, v0
	v_add_nc_u32_e32 v6, 1, v4
	s_delay_alu instid0(VALU_DEP_2) | instskip(NEXT) | instid1(VALU_DEP_2)
	v_cmp_le_u32_e32 vcc_lo, s10, v2
	v_dual_cndmask_b32 v2, v4, v6, vcc_lo :: v_dual_bitop2_b32 v5, s35, v5 bitop3:0x14
	s_and_not1_b32 vcc_lo, exec_lo, s44
	s_delay_alu instid0(VALU_DEP_1) | instskip(NEXT) | instid1(VALU_DEP_1)
	v_xor_b32_e32 v2, v2, v5
	v_sub_nc_u32_e32 v10, v2, v5
	s_delay_alu instid0(VALU_DEP_1) | instskip(NEXT) | instid1(VALU_DEP_1)
	v_mul_lo_u32 v2, v10, s34
	v_sub_nc_u32_e32 v4, v0, v2
	s_cbranch_vccnz .LBB8_14
; %bb.4:                                ;   in Loop: Header=BB8_3 Depth=1
	v_mul_lo_u32 v2, v10, s11
	s_delay_alu instid0(VALU_DEP_2) | instskip(SKIP_3) | instid1(VALU_DEP_3)
	v_mul_lo_u32 v6, v4, s12
	v_mov_b32_e32 v9, 0
	s_mov_b32 s2, 0
	s_mov_b64 s[36:37], s[22:23]
	v_subrev_nc_u32_e32 v5, s15, v2
	s_delay_alu instid0(VALU_DEP_3)
	v_subrev_nc_u32_e32 v11, s16, v6
	s_branch .LBB8_6
.LBB8_5:                                ;   in Loop: Header=BB8_6 Depth=2
	s_add_co_i32 s2, s2, 1
	s_add_nc_u64 s[36:37], s[36:37], s[24:25]
	s_cmp_eq_u32 s2, s6
	s_cbranch_scc1 .LBB8_14
.LBB8_6:                                ;   Parent Loop BB8_3 Depth=1
                                        ; =>  This Loop Header: Depth=2
                                        ;       Child Loop BB8_9 Depth 3
                                        ;         Child Loop BB8_12 Depth 4
	s_and_not1_b32 vcc_lo, exec_lo, s45
	s_cbranch_vccnz .LBB8_5
; %bb.7:                                ;   in Loop: Header=BB8_6 Depth=2
	s_mul_u64 s[38:39], s[2:3], s[28:29]
	s_mov_b32 s9, 0
	s_mov_b64 s[40:41], s[36:37]
	s_branch .LBB8_9
.LBB8_8:                                ;   in Loop: Header=BB8_9 Depth=3
	s_add_co_i32 s9, s9, 1
	s_add_nc_u64 s[40:41], s[40:41], s[18:19]
	s_cmp_eq_u32 s9, s8
	s_cbranch_scc1 .LBB8_5
.LBB8_9:                                ;   Parent Loop BB8_3 Depth=1
                                        ;     Parent Loop BB8_6 Depth=2
                                        ; =>    This Loop Header: Depth=3
                                        ;         Child Loop BB8_12 Depth 4
	s_and_not1_b32 vcc_lo, exec_lo, s46
	s_cbranch_vccnz .LBB8_8
; %bb.10:                               ;   in Loop: Header=BB8_9 Depth=3
	v_mad_u32 v2, s9, s13, v5
	s_mov_b64 s[42:43], s[40:41]
	s_mov_b32 s48, s18
	s_delay_alu instid0(VALU_DEP_1)
	v_add_nc_u64_e32 v[12:13], s[38:39], v[2:3]
	v_cmp_gt_i32_e32 vcc_lo, 0, v2
	v_cmp_le_i32_e64 s0, s28, v2
	v_mov_b32_e32 v2, v11
	s_or_b32 s47, vcc_lo, s0
	v_mad_nc_u64_u32 v[6:7], v12, s30, s[4:5]
	s_delay_alu instid0(VALU_DEP_1) | instskip(NEXT) | instid1(VALU_DEP_1)
	v_mad_u32 v7, v13, s30, v7
	v_mad_u32 v7, v12, s31, v7
	s_branch .LBB8_12
.LBB8_11:                               ;   in Loop: Header=BB8_12 Depth=4
	s_wait_xcnt 0x0
	s_or_b32 exec_lo, exec_lo, s0
	v_add_nc_u32_e32 v2, s14, v2
	s_add_co_i32 s48, s48, -1
	s_add_nc_u64 s[42:43], s[42:43], 1
	s_cmp_eq_u32 s48, 0
	s_cbranch_scc1 .LBB8_8
.LBB8_12:                               ;   Parent Loop BB8_3 Depth=1
                                        ;     Parent Loop BB8_6 Depth=2
                                        ;       Parent Loop BB8_9 Depth=3
                                        ; =>      This Inner Loop Header: Depth=4
	v_cmp_gt_i32_e32 vcc_lo, 0, v2
	v_cmp_le_i32_e64 s0, s30, v2
	s_or_b32 s0, vcc_lo, s0
	s_delay_alu instid0(SALU_CYCLE_1) | instskip(NEXT) | instid1(SALU_CYCLE_1)
	s_nor_b32 s49, s47, s0
	s_and_saveexec_b32 s0, s49
	s_cbranch_execz .LBB8_11
; %bb.13:                               ;   in Loop: Header=BB8_12 Depth=4
	v_add_nc_u64_e32 v[12:13], v[6:7], v[2:3]
	s_load_i8 s49, s[42:43], 0x0
	global_load_i8 v12, v[12:13], off
	s_wait_loadcnt 0x0
	s_wait_kmcnt 0x0
	v_mad_i32_i24 v9, s49, v12, v9
	s_branch .LBB8_11
.LBB8_14:                               ;   in Loop: Header=BB8_3 Depth=1
	s_delay_alu instid0(VALU_DEP_1) | instskip(SKIP_2) | instid1(VALU_DEP_1)
	v_ashrrev_i32_e32 v5, 31, v4
	s_and_b32 vcc_lo, exec_lo, s1
	s_mov_b32 s0, -1
	v_mad_nc_i64_i32 v[4:5], v10, s34, v[4:5]
	s_cbranch_vccz .LBB8_16
; %bb.15:                               ;   in Loop: Header=BB8_3 Depth=1
	s_delay_alu instid0(VALU_DEP_1)
	v_lshl_add_u64 v[6:7], v[4:5], 2, s[20:21]
	v_mul_lo_u32 v10, v9, v1
	s_mov_b32 s0, 0
	global_load_b32 v2, v[6:7], off
	s_wait_loadcnt 0x0
	v_mad_u32 v2, v2, v8, v10
	global_store_b32 v[6:7], v2, off
.LBB8_16:                               ;   in Loop: Header=BB8_3 Depth=1
	s_and_not1_b32 vcc_lo, exec_lo, s0
	s_cbranch_vccnz .LBB8_2
; %bb.17:                               ;   in Loop: Header=BB8_3 Depth=1
	s_delay_alu instid0(VALU_DEP_1)
	v_lshl_add_u64 v[4:5], v[4:5], 2, s[20:21]
	global_store_b32 v[4:5], v9, off
	s_branch .LBB8_2
.LBB8_18:
	s_endpgm
	.section	.rodata,"a",@progbits
	.p2align	6, 0x0
	.amdhsa_kernel naive_conv_ab_packed_fwd_nchw_int8_t_int32_t_int32_t
		.amdhsa_group_segment_fixed_size 0
		.amdhsa_private_segment_fixed_size 0
		.amdhsa_kernarg_size 480
		.amdhsa_user_sgpr_count 2
		.amdhsa_user_sgpr_dispatch_ptr 0
		.amdhsa_user_sgpr_queue_ptr 0
		.amdhsa_user_sgpr_kernarg_segment_ptr 1
		.amdhsa_user_sgpr_dispatch_id 0
		.amdhsa_user_sgpr_kernarg_preload_length 0
		.amdhsa_user_sgpr_kernarg_preload_offset 0
		.amdhsa_user_sgpr_private_segment_size 0
		.amdhsa_wavefront_size32 1
		.amdhsa_uses_dynamic_stack 0
		.amdhsa_enable_private_segment 0
		.amdhsa_system_sgpr_workgroup_id_x 1
		.amdhsa_system_sgpr_workgroup_id_y 0
		.amdhsa_system_sgpr_workgroup_id_z 0
		.amdhsa_system_sgpr_workgroup_info 0
		.amdhsa_system_vgpr_workitem_id 0
		.amdhsa_next_free_vgpr 14
		.amdhsa_next_free_sgpr 52
		.amdhsa_named_barrier_count 0
		.amdhsa_reserve_vcc 1
		.amdhsa_float_round_mode_32 0
		.amdhsa_float_round_mode_16_64 0
		.amdhsa_float_denorm_mode_32 3
		.amdhsa_float_denorm_mode_16_64 3
		.amdhsa_fp16_overflow 0
		.amdhsa_memory_ordered 1
		.amdhsa_forward_progress 1
		.amdhsa_inst_pref_size 11
		.amdhsa_round_robin_scheduling 0
		.amdhsa_exception_fp_ieee_invalid_op 0
		.amdhsa_exception_fp_denorm_src 0
		.amdhsa_exception_fp_ieee_div_zero 0
		.amdhsa_exception_fp_ieee_overflow 0
		.amdhsa_exception_fp_ieee_underflow 0
		.amdhsa_exception_fp_ieee_inexact 0
		.amdhsa_exception_int_div_zero 0
	.end_amdhsa_kernel
	.text
.Lfunc_end8:
	.size	naive_conv_ab_packed_fwd_nchw_int8_t_int32_t_int32_t, .Lfunc_end8-naive_conv_ab_packed_fwd_nchw_int8_t_int32_t_int32_t
                                        ; -- End function
	.set naive_conv_ab_packed_fwd_nchw_int8_t_int32_t_int32_t.num_vgpr, 14
	.set naive_conv_ab_packed_fwd_nchw_int8_t_int32_t_int32_t.num_agpr, 0
	.set naive_conv_ab_packed_fwd_nchw_int8_t_int32_t_int32_t.numbered_sgpr, 52
	.set naive_conv_ab_packed_fwd_nchw_int8_t_int32_t_int32_t.num_named_barrier, 0
	.set naive_conv_ab_packed_fwd_nchw_int8_t_int32_t_int32_t.private_seg_size, 0
	.set naive_conv_ab_packed_fwd_nchw_int8_t_int32_t_int32_t.uses_vcc, 1
	.set naive_conv_ab_packed_fwd_nchw_int8_t_int32_t_int32_t.uses_flat_scratch, 0
	.set naive_conv_ab_packed_fwd_nchw_int8_t_int32_t_int32_t.has_dyn_sized_stack, 0
	.set naive_conv_ab_packed_fwd_nchw_int8_t_int32_t_int32_t.has_recursion, 0
	.set naive_conv_ab_packed_fwd_nchw_int8_t_int32_t_int32_t.has_indirect_call, 0
	.section	.AMDGPU.csdata,"",@progbits
; Kernel info:
; codeLenInByte = 1336
; TotalNumSgprs: 54
; NumVgprs: 14
; ScratchSize: 0
; MemoryBound: 0
; FloatMode: 240
; IeeeMode: 1
; LDSByteSize: 0 bytes/workgroup (compile time only)
; SGPRBlocks: 0
; VGPRBlocks: 0
; NumSGPRsForWavesPerEU: 54
; NumVGPRsForWavesPerEU: 14
; NamedBarCnt: 0
; Occupancy: 16
; WaveLimiterHint : 0
; COMPUTE_PGM_RSRC2:SCRATCH_EN: 0
; COMPUTE_PGM_RSRC2:USER_SGPR: 2
; COMPUTE_PGM_RSRC2:TRAP_HANDLER: 0
; COMPUTE_PGM_RSRC2:TGID_X_EN: 1
; COMPUTE_PGM_RSRC2:TGID_Y_EN: 0
; COMPUTE_PGM_RSRC2:TGID_Z_EN: 0
; COMPUTE_PGM_RSRC2:TIDIG_COMP_CNT: 0
	.text
	.protected	naive_conv_ab_nonpacked_fwd_nchw_int8_t_int32_t_int32_t ; -- Begin function naive_conv_ab_nonpacked_fwd_nchw_int8_t_int32_t_int32_t
	.globl	naive_conv_ab_nonpacked_fwd_nchw_int8_t_int32_t_int32_t
	.p2align	8
	.type	naive_conv_ab_nonpacked_fwd_nchw_int8_t_int32_t_int32_t,@function
naive_conv_ab_nonpacked_fwd_nchw_int8_t_int32_t_int32_t: ; @naive_conv_ab_nonpacked_fwd_nchw_int8_t_int32_t_int32_t
; %bb.0:
	s_load_b256 s[20:27], s[0:1], 0xa0
	s_bfe_u32 s2, ttmp6, 0x4000c
	s_and_b32 s3, ttmp6, 15
	s_add_co_i32 s2, s2, 1
	s_getreg_b32 s4, hwreg(HW_REG_IB_STS2, 6, 4)
	s_mul_i32 s2, ttmp9, s2
	s_mov_b32 s11, exec_lo
	s_add_co_i32 s3, s3, s2
	s_cmp_eq_u32 s4, 0
	s_cselect_b32 s4, ttmp9, s3
	s_wait_kmcnt 0x0
	s_abs_i32 s3, s23
	s_mul_i32 s25, s26, s25
	s_cvt_f32_u32 s2, s3
	s_delay_alu instid0(SALU_CYCLE_3) | instskip(SKIP_1) | instid1(TRANS32_DEP_1)
	v_rcp_iflag_f32_e32 v1, s2
	v_nop
	v_readfirstlane_b32 s2, v1
	s_mul_f32 s2, s2, 0x4f7ffffe
	s_delay_alu instid0(SALU_CYCLE_3) | instskip(SKIP_1) | instid1(SALU_CYCLE_2)
	s_cvt_u32_f32 s5, s2
	s_sub_co_i32 s2, 0, s3
	s_mul_i32 s2, s2, s5
	s_delay_alu instid0(SALU_CYCLE_1) | instskip(SKIP_2) | instid1(SALU_CYCLE_1)
	s_mul_hi_u32 s6, s5, s2
	s_abs_i32 s2, s4
	s_add_co_i32 s5, s5, s6
	s_mul_hi_u32 s5, s2, s5
	s_delay_alu instid0(SALU_CYCLE_1) | instskip(SKIP_2) | instid1(SALU_CYCLE_1)
	s_mul_i32 s6, s5, s3
	s_add_co_i32 s7, s5, 1
	s_sub_co_i32 s6, s2, s6
	s_sub_co_i32 s8, s6, s3
	s_cmp_ge_u32 s6, s3
	s_cselect_b32 s5, s7, s5
	s_cselect_b32 s6, s8, s6
	s_add_co_i32 s8, s5, 1
	s_cmp_ge_u32 s6, s3
	s_mul_i32 s7, s23, s22
	s_cselect_b32 s9, s8, s5
	s_abs_i32 s6, s22
	s_abs_i32 s5, s7
	s_cvt_f32_u32 s3, s6
	s_cvt_f32_u32 s8, s5
	s_delay_alu instid0(SALU_CYCLE_2) | instskip(NEXT) | instid1(SALU_CYCLE_2)
	v_rcp_iflag_f32_e32 v1, s3
	v_rcp_iflag_f32_e32 v2, s8
	s_mov_b32 s3, 0
	s_delay_alu instid0(TRANS32_DEP_2) | instskip(NEXT) | instid1(TRANS32_DEP_1)
	v_readfirstlane_b32 s10, v1
	v_readfirstlane_b32 s8, v2
	v_cmpx_gt_i32_e64 s25, v0
	s_cbranch_execz .LBB9_18
; %bb.1:
	s_ashr_i32 s14, s4, 31
	s_ashr_i32 s11, s23, 31
	s_mul_f32 s10, s10, 0x4f7ffffe
	s_xor_b32 s11, s14, s11
	s_sub_co_i32 s16, 0, s5
	s_xor_b32 s9, s9, s11
	s_cvt_u32_f32 s10, s10
	s_sub_co_i32 s12, s9, s11
	s_sub_co_i32 s9, 0, s6
	s_mul_f32 s11, s8, 0x4f7ffffe
	s_mul_i32 s9, s9, s10
	s_abs_i32 s8, s12
	s_mul_hi_u32 s9, s10, s9
	s_cvt_u32_f32 s13, s11
	s_add_co_i32 s10, s10, s9
	s_mov_b32 s9, s3
	s_mov_b32 s11, s3
	s_mul_i32 s16, s16, s13
	s_mul_u64 s[10:11], s[8:9], s[10:11]
	s_mul_hi_u32 s9, s13, s16
	s_ashr_i32 s16, s7, 31
	s_mul_i32 s7, s11, s6
	s_ashr_i32 s15, s12, 31
	s_mul_i32 s12, s12, s23
	s_sub_co_i32 s7, s8, s7
	s_add_co_i32 s10, s13, s9
	s_sub_co_i32 s22, s4, s12
	s_sub_co_i32 s4, s7, s6
	s_cmp_ge_u32 s7, s6
	s_mov_b32 s11, s3
	s_cselect_b32 s4, s4, s7
	s_load_b256 s[36:43], s[0:1], 0xc0
	s_sub_co_i32 s7, s4, s6
	s_cmp_ge_u32 s4, s6
	s_load_b256 s[52:59], s[0:1], 0x0
	s_cselect_b32 s4, s7, s4
	s_mul_u64 s[6:7], s[2:3], s[10:11]
	s_xor_b32 s4, s4, s15
	s_clause 0x1
	s_load_b64 s[12:13], s[0:1], 0x98
	s_load_b128 s[8:11], s[0:1], 0x88
	s_sub_co_i32 s28, s4, s15
	s_mul_i32 s4, s7, s5
	s_xor_b32 s6, s14, s16
	s_sub_co_i32 s2, s2, s4
	s_add_co_i32 s4, s7, 1
	s_sub_co_i32 s14, s2, s5
	s_cmp_ge_u32 s2, s5
	s_load_b64 s[66:67], s[0:1], 0x20
	s_cselect_b32 s4, s4, s7
	s_cselect_b32 s2, s14, s2
	s_add_co_i32 s7, s4, 1
	s_cmp_ge_u32 s2, s5
	s_load_b256 s[44:51], s[0:1], 0x68
	s_cselect_b32 s2, s7, s4
	s_ashr_i32 s29, s28, 31
	s_xor_b32 s2, s2, s6
	s_ashr_i32 s23, s22, 31
	s_sub_co_i32 s30, s2, s6
	s_wait_kmcnt 0x0
	s_mul_u64 s[4:5], s[12:13], s[28:29]
	s_ashr_i32 s31, s30, 31
	s_mul_u64 s[8:9], s[8:9], s[22:23]
	s_mul_u64 s[6:7], s[10:11], s[30:31]
	s_lshl_b64 s[34:35], s[4:5], 2
	s_lshl_b64 s[62:63], s[6:7], 2
	;; [unrolled: 1-line block ×3, first 2 shown]
	s_load_b512 s[4:19], s[0:1], 0x28
	s_cmp_gt_i32 s24, 0
	v_cmp_neq_f64_e64 s2, s[56:57], 1.0
	s_cselect_b32 s33, -1, 0
	s_cmp_gt_i32 s41, 0
	v_cmp_neq_f64_e64 s68, s[58:59], 0
	s_cselect_b32 s43, -1, 0
	s_cmp_gt_i32 s42, 0
	v_cvt_i32_f64_e32 v1, s[56:57]
	s_cselect_b32 s60, -1, 0
	s_abs_i32 s61, s26
	v_cvt_i32_f64_e32 v8, s[58:59]
	s_cvt_f32_u32 s69, s61
	s_load_b32 s56, s[0:1], 0xec
	v_mov_b32_e32 v3, 0
	s_delay_alu instid0(SALU_CYCLE_1)
	v_rcp_iflag_f32_e32 v2, s69
	s_wait_kmcnt 0x0
	s_mul_u64 s[0:1], s[12:13], s[28:29]
	s_mul_u64 s[10:11], s[10:11], s[30:31]
	s_add_nc_u64 s[0:1], s[52:53], s[0:1]
	v_nop
	s_delay_alu instid0(TRANS32_DEP_1)
	v_readfirstlane_b32 s12, v2
	s_add_nc_u64 s[10:11], s[0:1], s[10:11]
	s_add_nc_u64 s[0:1], s[66:67], s[34:35]
	s_mul_u64 s[28:29], s[46:47], s[30:31]
	s_mul_u64 s[30:31], s[44:45], s[22:23]
	s_mul_f32 s12, s12, 0x4f7ffffe
	s_add_nc_u64 s[0:1], s[0:1], s[62:63]
	s_add_nc_u64 s[28:29], s[30:31], s[28:29]
	s_ashr_i32 s53, s26, 31
	s_cvt_u32_f32 s22, s12
	s_add_nc_u64 s[12:13], s[0:1], s[64:65]
	s_sub_co_i32 s0, 0, s61
	s_and_b32 s52, s56, 0xffff
	s_mul_i32 s0, s0, s22
	s_or_b32 s1, s2, s68
	s_mul_hi_u32 s0, s22, s0
	s_mov_b32 s23, s3
	s_add_co_i32 s22, s22, s0
	s_add_nc_u64 s[28:29], s[54:55], s[28:29]
	s_mov_b32 s54, 0
	s_branch .LBB9_3
.LBB9_2:                                ;   in Loop: Header=BB9_3 Depth=1
	v_add_nc_u32_e32 v0, s52, v0
	s_delay_alu instid0(VALU_DEP_1)
	v_cmp_le_i32_e32 vcc_lo, s25, v0
	s_or_b32 s54, vcc_lo, s54
	s_wait_xcnt 0x0
	s_and_not1_b32 exec_lo, exec_lo, s54
	s_cbranch_execz .LBB9_18
.LBB9_3:                                ; =>This Loop Header: Depth=1
                                        ;     Child Loop BB9_6 Depth 2
                                        ;       Child Loop BB9_9 Depth 3
                                        ;         Child Loop BB9_12 Depth 4
	v_sub_nc_u32_e32 v2, 0, v0
	s_delay_alu instid0(VALU_DEP_1) | instskip(NEXT) | instid1(VALU_DEP_1)
	v_max_i32_e32 v2, v0, v2
	v_mul_u64_e32 v[4:5], s[22:23], v[2:3]
	s_delay_alu instid0(VALU_DEP_1) | instskip(NEXT) | instid1(VALU_DEP_1)
	v_mul_lo_u32 v4, v5, s61
	v_dual_sub_nc_u32 v2, v2, v4 :: v_dual_add_nc_u32 v4, 1, v5
	s_delay_alu instid0(VALU_DEP_1) | instskip(SKIP_1) | instid1(VALU_DEP_3)
	v_subrev_nc_u32_e32 v6, s61, v2
	v_cmp_le_u32_e32 vcc_lo, s61, v2
	v_cndmask_b32_e32 v4, v5, v4, vcc_lo
	s_delay_alu instid0(VALU_DEP_3) | instskip(NEXT) | instid1(VALU_DEP_2)
	v_dual_cndmask_b32 v2, v2, v6 :: v_dual_ashrrev_i32 v5, 31, v0
	v_add_nc_u32_e32 v6, 1, v4
	s_delay_alu instid0(VALU_DEP_2) | instskip(NEXT) | instid1(VALU_DEP_2)
	v_cmp_le_u32_e32 vcc_lo, s61, v2
	v_dual_cndmask_b32 v2, v4, v6, vcc_lo :: v_dual_bitop2_b32 v5, s53, v5 bitop3:0x14
	s_and_not1_b32 vcc_lo, exec_lo, s33
	s_delay_alu instid0(VALU_DEP_1) | instskip(NEXT) | instid1(VALU_DEP_1)
	v_xor_b32_e32 v2, v2, v5
	v_sub_nc_u32_e32 v4, v2, v5
	s_delay_alu instid0(VALU_DEP_1) | instskip(NEXT) | instid1(VALU_DEP_1)
	v_mul_lo_u32 v2, v4, s26
	v_dual_mov_b32 v2, 0 :: v_dual_sub_nc_u32 v9, v0, v2
	s_cbranch_vccnz .LBB9_14
; %bb.4:                                ;   in Loop: Header=BB9_3 Depth=1
	v_mul_lo_u32 v2, v4, s27
	s_delay_alu instid0(VALU_DEP_2) | instskip(SKIP_2) | instid1(VALU_DEP_2)
	v_mul_lo_u32 v6, v9, s36
	s_mov_b32 s2, 0
	s_mov_b64 s[30:31], s[28:29]
	v_subrev_nc_u32_e32 v5, s39, v2
	s_delay_alu instid0(VALU_DEP_2)
	v_subrev_nc_u32_e32 v10, s40, v6
	v_mov_b32_e32 v2, 0
	s_branch .LBB9_6
.LBB9_5:                                ;   in Loop: Header=BB9_6 Depth=2
	s_add_co_i32 s2, s2, 1
	s_add_nc_u64 s[30:31], s[30:31], s[18:19]
	s_cmp_eq_u32 s2, s24
	s_cbranch_scc1 .LBB9_14
.LBB9_6:                                ;   Parent Loop BB9_3 Depth=1
                                        ; =>  This Loop Header: Depth=2
                                        ;       Child Loop BB9_9 Depth 3
                                        ;         Child Loop BB9_12 Depth 4
	s_and_not1_b32 vcc_lo, exec_lo, s43
	s_cbranch_vccnz .LBB9_5
; %bb.7:                                ;   in Loop: Header=BB9_6 Depth=2
	s_mul_u64 s[34:35], s[8:9], s[2:3]
	s_mov_b32 s55, 0
	s_add_nc_u64 s[34:35], s[10:11], s[34:35]
	s_mov_b64 s[44:45], s[30:31]
	s_branch .LBB9_9
.LBB9_8:                                ;   in Loop: Header=BB9_9 Depth=3
	s_add_co_i32 s55, s55, 1
	s_add_nc_u64 s[44:45], s[44:45], s[16:17]
	s_cmp_eq_u32 s55, s41
	s_cbranch_scc1 .LBB9_5
.LBB9_9:                                ;   Parent Loop BB9_3 Depth=1
                                        ;     Parent Loop BB9_6 Depth=2
                                        ; =>    This Loop Header: Depth=3
                                        ;         Child Loop BB9_12 Depth 4
	s_and_not1_b32 vcc_lo, exec_lo, s60
	s_cbranch_vccnz .LBB9_8
; %bb.10:                               ;   in Loop: Header=BB9_9 Depth=3
	v_mad_u32 v11, s55, s37, v5
	s_mov_b64 s[46:47], s[44:45]
	s_mov_b32 s57, s42
	s_delay_alu instid0(VALU_DEP_1)
	v_mad_nc_u64_u32 v[6:7], s6, v11, s[34:35]
	v_cmp_gt_i32_e32 vcc_lo, 0, v11
	v_cmp_le_i32_e64 s0, s20, v11
	s_or_b32 s56, vcc_lo, s0
	v_mad_u32 v7, s7, v11, v7
	v_mov_b32_e32 v11, v10
	s_branch .LBB9_12
.LBB9_11:                               ;   in Loop: Header=BB9_12 Depth=4
	s_wait_xcnt 0x0
	s_or_b32 exec_lo, exec_lo, s0
	v_add_nc_u32_e32 v11, s38, v11
	s_add_co_i32 s57, s57, -1
	s_add_nc_u64 s[46:47], s[46:47], s[14:15]
	s_cmp_eq_u32 s57, 0
	s_cbranch_scc1 .LBB9_8
.LBB9_12:                               ;   Parent Loop BB9_3 Depth=1
                                        ;     Parent Loop BB9_6 Depth=2
                                        ;       Parent Loop BB9_9 Depth=3
                                        ; =>      This Inner Loop Header: Depth=4
	s_delay_alu instid0(VALU_DEP_1) | instskip(SKIP_2) | instid1(SALU_CYCLE_1)
	v_cmp_gt_i32_e32 vcc_lo, 0, v11
	v_cmp_le_i32_e64 s0, s21, v11
	s_or_b32 s0, vcc_lo, s0
	s_nor_b32 s58, s56, s0
	s_delay_alu instid0(SALU_CYCLE_1)
	s_and_saveexec_b32 s0, s58
	s_cbranch_execz .LBB9_11
; %bb.13:                               ;   in Loop: Header=BB9_12 Depth=4
	v_mad_nc_u64_u32 v[12:13], s4, v11, v[6:7]
	s_load_i8 s58, s[46:47], 0x0
	s_delay_alu instid0(VALU_DEP_1)
	v_mad_u32 v13, s5, v11, v13
	global_load_i8 v12, v[12:13], off
	s_wait_loadcnt 0x0
	s_wait_kmcnt 0x0
	v_mad_i32_i24 v2, s58, v12, v2
	s_branch .LBB9_11
.LBB9_14:                               ;   in Loop: Header=BB9_3 Depth=1
	s_delay_alu instid0(VALU_DEP_1) | instskip(SKIP_2) | instid1(VALU_DEP_1)
	v_dual_ashrrev_i32 v5, 31, v4 :: v_dual_ashrrev_i32 v6, 31, v9
	s_and_b32 vcc_lo, exec_lo, s1
	s_mov_b32 s0, -1
	v_mul_u64_e32 v[4:5], s[50:51], v[4:5]
	s_delay_alu instid0(VALU_DEP_1) | instskip(NEXT) | instid1(VALU_DEP_1)
	v_mad_nc_u64_u32 v[4:5], s48, v9, v[4:5]
	v_mad_u32 v5, s49, v9, v5
	s_delay_alu instid0(VALU_DEP_1)
	v_mad_u32 v5, s48, v6, v5
	s_cbranch_vccz .LBB9_16
; %bb.15:                               ;   in Loop: Header=BB9_3 Depth=1
	s_delay_alu instid0(VALU_DEP_1)
	v_lshl_add_u64 v[6:7], v[4:5], 2, s[12:13]
	v_mul_lo_u32 v10, v2, v1
	s_mov_b32 s0, 0
	global_load_b32 v9, v[6:7], off
	s_wait_loadcnt 0x0
	v_mad_u32 v9, v9, v8, v10
	global_store_b32 v[6:7], v9, off
.LBB9_16:                               ;   in Loop: Header=BB9_3 Depth=1
	s_and_not1_b32 vcc_lo, exec_lo, s0
	s_cbranch_vccnz .LBB9_2
; %bb.17:                               ;   in Loop: Header=BB9_3 Depth=1
	s_delay_alu instid0(VALU_DEP_1)
	v_lshl_add_u64 v[4:5], v[4:5], 2, s[12:13]
	global_store_b32 v[4:5], v2, off
	s_branch .LBB9_2
.LBB9_18:
	s_endpgm
	.section	.rodata,"a",@progbits
	.p2align	6, 0x0
	.amdhsa_kernel naive_conv_ab_nonpacked_fwd_nchw_int8_t_int32_t_int32_t
		.amdhsa_group_segment_fixed_size 0
		.amdhsa_private_segment_fixed_size 0
		.amdhsa_kernarg_size 480
		.amdhsa_user_sgpr_count 2
		.amdhsa_user_sgpr_dispatch_ptr 0
		.amdhsa_user_sgpr_queue_ptr 0
		.amdhsa_user_sgpr_kernarg_segment_ptr 1
		.amdhsa_user_sgpr_dispatch_id 0
		.amdhsa_user_sgpr_kernarg_preload_length 0
		.amdhsa_user_sgpr_kernarg_preload_offset 0
		.amdhsa_user_sgpr_private_segment_size 0
		.amdhsa_wavefront_size32 1
		.amdhsa_uses_dynamic_stack 0
		.amdhsa_enable_private_segment 0
		.amdhsa_system_sgpr_workgroup_id_x 1
		.amdhsa_system_sgpr_workgroup_id_y 0
		.amdhsa_system_sgpr_workgroup_id_z 0
		.amdhsa_system_sgpr_workgroup_info 0
		.amdhsa_system_vgpr_workitem_id 0
		.amdhsa_next_free_vgpr 14
		.amdhsa_next_free_sgpr 70
		.amdhsa_named_barrier_count 0
		.amdhsa_reserve_vcc 1
		.amdhsa_float_round_mode_32 0
		.amdhsa_float_round_mode_16_64 0
		.amdhsa_float_denorm_mode_32 3
		.amdhsa_float_denorm_mode_16_64 3
		.amdhsa_fp16_overflow 0
		.amdhsa_memory_ordered 1
		.amdhsa_forward_progress 1
		.amdhsa_inst_pref_size 11
		.amdhsa_round_robin_scheduling 0
		.amdhsa_exception_fp_ieee_invalid_op 0
		.amdhsa_exception_fp_denorm_src 0
		.amdhsa_exception_fp_ieee_div_zero 0
		.amdhsa_exception_fp_ieee_overflow 0
		.amdhsa_exception_fp_ieee_underflow 0
		.amdhsa_exception_fp_ieee_inexact 0
		.amdhsa_exception_int_div_zero 0
	.end_amdhsa_kernel
	.text
.Lfunc_end9:
	.size	naive_conv_ab_nonpacked_fwd_nchw_int8_t_int32_t_int32_t, .Lfunc_end9-naive_conv_ab_nonpacked_fwd_nchw_int8_t_int32_t_int32_t
                                        ; -- End function
	.set naive_conv_ab_nonpacked_fwd_nchw_int8_t_int32_t_int32_t.num_vgpr, 14
	.set naive_conv_ab_nonpacked_fwd_nchw_int8_t_int32_t_int32_t.num_agpr, 0
	.set naive_conv_ab_nonpacked_fwd_nchw_int8_t_int32_t_int32_t.numbered_sgpr, 70
	.set naive_conv_ab_nonpacked_fwd_nchw_int8_t_int32_t_int32_t.num_named_barrier, 0
	.set naive_conv_ab_nonpacked_fwd_nchw_int8_t_int32_t_int32_t.private_seg_size, 0
	.set naive_conv_ab_nonpacked_fwd_nchw_int8_t_int32_t_int32_t.uses_vcc, 1
	.set naive_conv_ab_nonpacked_fwd_nchw_int8_t_int32_t_int32_t.uses_flat_scratch, 0
	.set naive_conv_ab_nonpacked_fwd_nchw_int8_t_int32_t_int32_t.has_dyn_sized_stack, 0
	.set naive_conv_ab_nonpacked_fwd_nchw_int8_t_int32_t_int32_t.has_recursion, 0
	.set naive_conv_ab_nonpacked_fwd_nchw_int8_t_int32_t_int32_t.has_indirect_call, 0
	.section	.AMDGPU.csdata,"",@progbits
; Kernel info:
; codeLenInByte = 1352
; TotalNumSgprs: 72
; NumVgprs: 14
; ScratchSize: 0
; MemoryBound: 0
; FloatMode: 240
; IeeeMode: 1
; LDSByteSize: 0 bytes/workgroup (compile time only)
; SGPRBlocks: 0
; VGPRBlocks: 0
; NumSGPRsForWavesPerEU: 72
; NumVGPRsForWavesPerEU: 14
; NamedBarCnt: 0
; Occupancy: 16
; WaveLimiterHint : 0
; COMPUTE_PGM_RSRC2:SCRATCH_EN: 0
; COMPUTE_PGM_RSRC2:USER_SGPR: 2
; COMPUTE_PGM_RSRC2:TRAP_HANDLER: 0
; COMPUTE_PGM_RSRC2:TGID_X_EN: 1
; COMPUTE_PGM_RSRC2:TGID_Y_EN: 0
; COMPUTE_PGM_RSRC2:TGID_Z_EN: 0
; COMPUTE_PGM_RSRC2:TIDIG_COMP_CNT: 0
	.text
	.protected	naive_conv_ab_packed_fwd_nchw_int8_t_int32_t_float ; -- Begin function naive_conv_ab_packed_fwd_nchw_int8_t_int32_t_float
	.globl	naive_conv_ab_packed_fwd_nchw_int8_t_int32_t_float
	.p2align	8
	.type	naive_conv_ab_packed_fwd_nchw_int8_t_int32_t_float,@function
naive_conv_ab_packed_fwd_nchw_int8_t_int32_t_float: ; @naive_conv_ab_packed_fwd_nchw_int8_t_int32_t_float
; %bb.0:
	s_load_b512 s[4:19], s[0:1], 0xa0
	s_bfe_u32 s2, ttmp6, 0x4000c
	s_and_b32 s3, ttmp6, 15
	s_add_co_i32 s2, s2, 1
	s_getreg_b32 s20, hwreg(HW_REG_IB_STS2, 6, 4)
	s_mul_i32 s2, ttmp9, s2
	s_mov_b32 s26, exec_lo
	s_add_co_i32 s3, s3, s2
	s_cmp_eq_u32 s20, 0
	s_cselect_b32 s20, ttmp9, s3
	s_wait_kmcnt 0x0
	s_abs_i32 s3, s7
	s_mul_i32 s33, s10, s9
	s_cvt_f32_u32 s2, s3
	s_delay_alu instid0(SALU_CYCLE_3) | instskip(SKIP_1) | instid1(TRANS32_DEP_1)
	v_rcp_iflag_f32_e32 v1, s2
	v_nop
	v_readfirstlane_b32 s2, v1
	s_mul_f32 s2, s2, 0x4f7ffffe
	s_delay_alu instid0(SALU_CYCLE_3) | instskip(SKIP_1) | instid1(SALU_CYCLE_2)
	s_cvt_u32_f32 s21, s2
	s_sub_co_i32 s2, 0, s3
	s_mul_i32 s2, s2, s21
	s_delay_alu instid0(SALU_CYCLE_1) | instskip(SKIP_2) | instid1(SALU_CYCLE_1)
	s_mul_hi_u32 s22, s21, s2
	s_abs_i32 s2, s20
	s_add_co_i32 s21, s21, s22
	s_mul_hi_u32 s21, s2, s21
	s_delay_alu instid0(SALU_CYCLE_1) | instskip(SKIP_2) | instid1(SALU_CYCLE_1)
	s_mul_i32 s22, s21, s3
	s_add_co_i32 s23, s21, 1
	s_sub_co_i32 s22, s2, s22
	s_sub_co_i32 s24, s22, s3
	s_cmp_ge_u32 s22, s3
	s_cselect_b32 s21, s23, s21
	s_cselect_b32 s22, s24, s22
	s_add_co_i32 s23, s21, 1
	s_cmp_ge_u32 s22, s3
	s_mul_i32 s22, s7, s6
	s_cselect_b32 s24, s23, s21
	s_abs_i32 s21, s6
	s_abs_i32 s6, s22
	s_cvt_f32_u32 s3, s21
	s_cvt_f32_u32 s23, s6
	s_delay_alu instid0(SALU_CYCLE_2) | instskip(NEXT) | instid1(SALU_CYCLE_2)
	v_rcp_iflag_f32_e32 v1, s3
	v_rcp_iflag_f32_e32 v2, s23
	s_mov_b32 s3, 0
	s_delay_alu instid0(TRANS32_DEP_2) | instskip(NEXT) | instid1(TRANS32_DEP_1)
	v_readfirstlane_b32 s25, v1
	v_readfirstlane_b32 s23, v2
	v_cmpx_gt_i32_e64 s33, v0
	s_cbranch_execz .LBB10_16
; %bb.1:
	s_ashr_i32 s28, s20, 31
	s_ashr_i32 s35, s7, 31
	s_mul_f32 s25, s25, 0x4f7ffffe
	s_xor_b32 s26, s28, s35
	s_mul_f32 s23, s23, 0x4f7ffffe
	s_xor_b32 s24, s24, s26
	s_cvt_u32_f32 s25, s25
	s_sub_co_i32 s29, s24, s26
	s_sub_co_i32 s24, 0, s21
	s_cvt_u32_f32 s23, s23
	s_mul_i32 s24, s24, s25
	s_sub_co_i32 s31, 0, s6
	s_mul_hi_u32 s26, s25, s24
	s_abs_i32 s24, s29
	s_add_co_i32 s26, s25, s26
	s_mov_b32 s25, s3
	s_mov_b32 s27, s3
	s_mul_i32 s31, s31, s23
	s_mul_u64 s[26:27], s[24:25], s[26:27]
	s_mul_hi_u32 s25, s23, s31
	s_ashr_i32 s26, s22, 31
	s_add_co_i32 s22, s23, s25
	s_mul_i32 s23, s27, s21
	s_ashr_i32 s30, s29, 31
	s_mul_i32 s29, s29, s7
	s_sub_co_i32 s23, s24, s23
	s_sub_co_i32 s36, s20, s29
	;; [unrolled: 1-line block ×3, first 2 shown]
	s_cmp_ge_u32 s23, s21
	s_mul_i32 s40, s19, s7
	s_cselect_b32 s20, s20, s23
	s_mov_b32 s34, s7
	s_sub_co_i32 s23, s20, s21
	s_cmp_ge_u32 s20, s21
	s_mov_b32 s44, s9
	s_cselect_b32 s20, s23, s20
	s_mov_b32 s23, s3
	s_xor_b32 s24, s20, s30
	s_mul_u64 s[20:21], s[2:3], s[22:23]
	s_sub_co_i32 s38, s24, s30
	s_mul_i32 s20, s21, s6
	s_xor_b32 s28, s28, s26
	s_sub_co_i32 s2, s2, s20
	s_add_co_i32 s20, s21, 1
	s_sub_co_i32 s22, s2, s6
	s_cmp_ge_u32 s2, s6
	s_mul_i32 s42, s19, s8
	s_cselect_b32 s29, s20, s21
	s_cselect_b32 s2, s22, s2
	s_add_co_i32 s30, s29, 1
	s_cmp_ge_u32 s2, s6
	s_load_b256 s[20:27], s[0:1], 0x0
	s_cselect_b32 s2, s30, s29
	s_ashr_i32 s39, s38, 31
	s_xor_b32 s2, s2, s28
	s_ashr_i32 s37, s36, 31
	s_sub_co_i32 s48, s2, s28
	s_ashr_i32 s41, s40, 31
	s_ashr_i32 s49, s48, 31
	s_mul_u64 s[40:41], s[38:39], s[40:41]
	s_mul_u64 s[34:35], s[48:49], s[34:35]
	s_ashr_i32 s45, s9, 31
	s_add_nc_u64 s[36:37], s[34:35], s[36:37]
	s_ashr_i32 s35, s10, 31
	s_mov_b32 s34, s10
	s_add_nc_u64 s[40:41], s[36:37], s[40:41]
	s_mul_u64 s[44:45], s[34:35], s[44:45]
	s_ashr_i32 s43, s42, 31
	s_mul_u64 s[40:41], s[44:45], s[40:41]
	s_ashr_i32 s29, s4, 31
	s_ashr_i32 s31, s5, 31
	;; [unrolled: 1-line block ×5, first 2 shown]
	s_lshl_b64 s[40:41], s[40:41], 2
	s_cmp_gt_i32 s8, 0
	s_mul_u64 s[38:39], s[38:39], s[42:43]
	s_cselect_b32 s44, -1, 0
	s_cmp_gt_i32 s17, 0
	s_wait_kmcnt 0x0
	v_cmp_neq_f64_e64 s42, s[24:25], 1.0
	s_cselect_b32 s45, -1, 0
	s_cmp_gt_i32 s18, 0
	v_cmp_neq_f64_e64 s43, s[26:27], 0
	s_cselect_b32 s46, -1, 0
	s_abs_i32 s10, s10
	v_cvt_i32_f64_e32 v1, s[24:25]
	v_cvt_i32_f64_e32 v10, s[26:27]
	s_cvt_f32_u32 s2, s10
	s_clause 0x1
	s_load_b64 s[50:51], s[0:1], 0x20
	s_load_b32 s47, s[0:1], 0xec
	s_mov_b32 s6, s8
	v_rcp_iflag_f32_e32 v2, s2
	s_mov_b32 s28, s4
	s_mov_b32 s30, s5
	s_wait_xcnt 0x0
	s_mul_u64 s[0:1], s[48:49], s[6:7]
	s_mul_u64 s[4:5], s[30:31], s[28:29]
	s_add_nc_u64 s[0:1], s[0:1], s[38:39]
	s_mov_b32 s8, s17
	v_nop
	v_readfirstlane_b32 s2, v2
	s_mul_u64 s[0:1], s[4:5], s[0:1]
	s_mul_u64 s[24:25], s[18:19], s[8:9]
	s_add_nc_u64 s[4:5], s[20:21], s[0:1]
	s_mul_u64 s[36:37], s[24:25], s[36:37]
	s_mul_f32 s2, s2, 0x4f7ffffe
	v_mov_b32_e32 v3, 0
	s_mul_u64 s[36:37], s[36:37], s[6:7]
	s_mov_b32 s27, s3
	s_cvt_u32_f32 s0, s2
	s_sub_co_i32 s2, 0, s10
	s_wait_kmcnt 0x0
	s_add_nc_u64 s[20:21], s[50:51], s[40:41]
	s_and_b32 s1, s47, 0xffff
	s_mul_i32 s2, s2, s0
	s_add_nc_u64 s[22:23], s[22:23], s[36:37]
	s_mul_hi_u32 s2, s0, s2
	s_or_b32 s7, s42, s43
	s_add_co_i32 s26, s0, s2
	s_mov_b32 s9, 0
	s_branch .LBB10_3
.LBB10_2:                               ;   in Loop: Header=BB10_3 Depth=1
	v_add_nc_u32_e32 v0, s1, v0
	s_delay_alu instid0(VALU_DEP_2) | instskip(NEXT) | instid1(VALU_DEP_2)
	v_cvt_f32_i32_e32 v2, v11
	v_cmp_le_i32_e32 vcc_lo, s33, v0
	global_store_b32 v[4:5], v2, off
	s_or_b32 s9, vcc_lo, s9
	s_wait_xcnt 0x0
	s_and_not1_b32 exec_lo, exec_lo, s9
	s_cbranch_execz .LBB10_16
.LBB10_3:                               ; =>This Loop Header: Depth=1
                                        ;     Child Loop BB10_6 Depth 2
                                        ;       Child Loop BB10_9 Depth 3
                                        ;         Child Loop BB10_12 Depth 4
	v_dual_mov_b32 v11, v3 :: v_dual_sub_nc_u32 v2, 0, v0
	s_delay_alu instid0(VALU_DEP_1) | instskip(NEXT) | instid1(VALU_DEP_1)
	v_max_i32_e32 v2, v0, v2
	v_mul_u64_e32 v[4:5], s[26:27], v[2:3]
	s_delay_alu instid0(VALU_DEP_1) | instskip(NEXT) | instid1(VALU_DEP_1)
	v_mul_lo_u32 v4, v5, s10
	v_dual_sub_nc_u32 v2, v2, v4 :: v_dual_add_nc_u32 v4, 1, v5
	s_delay_alu instid0(VALU_DEP_1) | instskip(SKIP_1) | instid1(VALU_DEP_3)
	v_subrev_nc_u32_e32 v6, s10, v2
	v_cmp_le_u32_e32 vcc_lo, s10, v2
	v_cndmask_b32_e32 v4, v5, v4, vcc_lo
	s_delay_alu instid0(VALU_DEP_3) | instskip(NEXT) | instid1(VALU_DEP_2)
	v_dual_cndmask_b32 v2, v2, v6 :: v_dual_ashrrev_i32 v5, 31, v0
	v_add_nc_u32_e32 v6, 1, v4
	s_delay_alu instid0(VALU_DEP_2) | instskip(NEXT) | instid1(VALU_DEP_2)
	v_cmp_le_u32_e32 vcc_lo, s10, v2
	v_dual_cndmask_b32 v2, v4, v6, vcc_lo :: v_dual_bitop2_b32 v5, s35, v5 bitop3:0x14
	s_and_not1_b32 vcc_lo, exec_lo, s44
	s_delay_alu instid0(VALU_DEP_1) | instskip(NEXT) | instid1(VALU_DEP_1)
	v_xor_b32_e32 v2, v2, v5
	v_sub_nc_u32_e32 v6, v2, v5
	s_delay_alu instid0(VALU_DEP_1) | instskip(NEXT) | instid1(VALU_DEP_1)
	v_mul_lo_u32 v2, v6, s34
	v_sub_nc_u32_e32 v4, v0, v2
	s_cbranch_vccnz .LBB10_14
; %bb.4:                                ;   in Loop: Header=BB10_3 Depth=1
	v_mul_lo_u32 v2, v6, s11
	s_delay_alu instid0(VALU_DEP_2) | instskip(SKIP_3) | instid1(VALU_DEP_3)
	v_mul_lo_u32 v7, v4, s12
	v_mov_b32_e32 v11, 0
	s_mov_b32 s2, 0
	s_mov_b64 s[36:37], s[22:23]
	v_subrev_nc_u32_e32 v5, s15, v2
	s_delay_alu instid0(VALU_DEP_3)
	v_subrev_nc_u32_e32 v7, s16, v7
	s_branch .LBB10_6
.LBB10_5:                               ;   in Loop: Header=BB10_6 Depth=2
	s_add_co_i32 s2, s2, 1
	s_add_nc_u64 s[36:37], s[36:37], s[24:25]
	s_cmp_eq_u32 s2, s6
	s_cbranch_scc1 .LBB10_14
.LBB10_6:                               ;   Parent Loop BB10_3 Depth=1
                                        ; =>  This Loop Header: Depth=2
                                        ;       Child Loop BB10_9 Depth 3
                                        ;         Child Loop BB10_12 Depth 4
	s_and_not1_b32 vcc_lo, exec_lo, s45
	s_cbranch_vccnz .LBB10_5
; %bb.7:                                ;   in Loop: Header=BB10_6 Depth=2
	s_mul_u64 s[38:39], s[2:3], s[28:29]
	s_mov_b32 s17, 0
	s_mov_b64 s[40:41], s[36:37]
	s_branch .LBB10_9
.LBB10_8:                               ;   in Loop: Header=BB10_9 Depth=3
	s_add_co_i32 s17, s17, 1
	s_add_nc_u64 s[40:41], s[40:41], s[18:19]
	s_cmp_eq_u32 s17, s8
	s_cbranch_scc1 .LBB10_5
.LBB10_9:                               ;   Parent Loop BB10_3 Depth=1
                                        ;     Parent Loop BB10_6 Depth=2
                                        ; =>    This Loop Header: Depth=3
                                        ;         Child Loop BB10_12 Depth 4
	s_and_not1_b32 vcc_lo, exec_lo, s46
	s_cbranch_vccnz .LBB10_8
; %bb.10:                               ;   in Loop: Header=BB10_9 Depth=3
	v_mad_u32 v2, s17, s13, v5
	s_mov_b64 s[42:43], s[40:41]
	s_mov_b32 s48, s18
	s_delay_alu instid0(VALU_DEP_1)
	v_add_nc_u64_e32 v[12:13], s[38:39], v[2:3]
	v_cmp_gt_i32_e32 vcc_lo, 0, v2
	v_cmp_le_i32_e64 s0, s28, v2
	v_mov_b32_e32 v2, v7
	s_or_b32 s47, vcc_lo, s0
	v_mad_nc_u64_u32 v[8:9], v12, s30, s[4:5]
	s_delay_alu instid0(VALU_DEP_1) | instskip(NEXT) | instid1(VALU_DEP_1)
	v_mad_u32 v9, v13, s30, v9
	v_mad_u32 v9, v12, s31, v9
	s_branch .LBB10_12
.LBB10_11:                              ;   in Loop: Header=BB10_12 Depth=4
	s_wait_xcnt 0x0
	s_or_b32 exec_lo, exec_lo, s0
	v_add_nc_u32_e32 v2, s14, v2
	s_add_co_i32 s48, s48, -1
	s_add_nc_u64 s[42:43], s[42:43], 1
	s_cmp_eq_u32 s48, 0
	s_cbranch_scc1 .LBB10_8
.LBB10_12:                              ;   Parent Loop BB10_3 Depth=1
                                        ;     Parent Loop BB10_6 Depth=2
                                        ;       Parent Loop BB10_9 Depth=3
                                        ; =>      This Inner Loop Header: Depth=4
	v_cmp_gt_i32_e32 vcc_lo, 0, v2
	v_cmp_le_i32_e64 s0, s30, v2
	s_or_b32 s0, vcc_lo, s0
	s_delay_alu instid0(SALU_CYCLE_1) | instskip(NEXT) | instid1(SALU_CYCLE_1)
	s_nor_b32 s49, s47, s0
	s_and_saveexec_b32 s0, s49
	s_cbranch_execz .LBB10_11
; %bb.13:                               ;   in Loop: Header=BB10_12 Depth=4
	v_add_nc_u64_e32 v[12:13], v[8:9], v[2:3]
	s_load_i8 s49, s[42:43], 0x0
	global_load_i8 v12, v[12:13], off
	s_wait_loadcnt 0x0
	s_wait_kmcnt 0x0
	v_mad_i32_i24 v11, s49, v12, v11
	s_branch .LBB10_11
.LBB10_14:                              ;   in Loop: Header=BB10_3 Depth=1
	s_delay_alu instid0(VALU_DEP_1) | instskip(SKIP_1) | instid1(VALU_DEP_1)
	v_dual_ashrrev_i32 v7, 31, v6 :: v_dual_ashrrev_i32 v5, 31, v4
	s_and_not1_b32 vcc_lo, exec_lo, s7
	v_mul_u64_e32 v[6:7], s[34:35], v[6:7]
	s_delay_alu instid0(VALU_DEP_1) | instskip(NEXT) | instid1(VALU_DEP_1)
	v_lshl_add_u64 v[6:7], v[6:7], 2, s[20:21]
	v_lshl_add_u64 v[4:5], v[4:5], 2, v[6:7]
	s_cbranch_vccnz .LBB10_2
; %bb.15:                               ;   in Loop: Header=BB10_3 Depth=1
	global_load_b32 v2, v[4:5], off
	v_mul_lo_u32 v6, v11, v1
	s_wait_loadcnt 0x0
	v_cvt_i32_f32_e32 v2, v2
	s_delay_alu instid0(VALU_DEP_1)
	v_mad_u32 v11, v2, v10, v6
	s_branch .LBB10_2
.LBB10_16:
	s_endpgm
	.section	.rodata,"a",@progbits
	.p2align	6, 0x0
	.amdhsa_kernel naive_conv_ab_packed_fwd_nchw_int8_t_int32_t_float
		.amdhsa_group_segment_fixed_size 0
		.amdhsa_private_segment_fixed_size 0
		.amdhsa_kernarg_size 480
		.amdhsa_user_sgpr_count 2
		.amdhsa_user_sgpr_dispatch_ptr 0
		.amdhsa_user_sgpr_queue_ptr 0
		.amdhsa_user_sgpr_kernarg_segment_ptr 1
		.amdhsa_user_sgpr_dispatch_id 0
		.amdhsa_user_sgpr_kernarg_preload_length 0
		.amdhsa_user_sgpr_kernarg_preload_offset 0
		.amdhsa_user_sgpr_private_segment_size 0
		.amdhsa_wavefront_size32 1
		.amdhsa_uses_dynamic_stack 0
		.amdhsa_enable_private_segment 0
		.amdhsa_system_sgpr_workgroup_id_x 1
		.amdhsa_system_sgpr_workgroup_id_y 0
		.amdhsa_system_sgpr_workgroup_id_z 0
		.amdhsa_system_sgpr_workgroup_info 0
		.amdhsa_system_vgpr_workitem_id 0
		.amdhsa_next_free_vgpr 14
		.amdhsa_next_free_sgpr 52
		.amdhsa_named_barrier_count 0
		.amdhsa_reserve_vcc 1
		.amdhsa_float_round_mode_32 0
		.amdhsa_float_round_mode_16_64 0
		.amdhsa_float_denorm_mode_32 3
		.amdhsa_float_denorm_mode_16_64 3
		.amdhsa_fp16_overflow 0
		.amdhsa_memory_ordered 1
		.amdhsa_forward_progress 1
		.amdhsa_inst_pref_size 11
		.amdhsa_round_robin_scheduling 0
		.amdhsa_exception_fp_ieee_invalid_op 0
		.amdhsa_exception_fp_denorm_src 0
		.amdhsa_exception_fp_ieee_div_zero 0
		.amdhsa_exception_fp_ieee_overflow 0
		.amdhsa_exception_fp_ieee_underflow 0
		.amdhsa_exception_fp_ieee_inexact 0
		.amdhsa_exception_int_div_zero 0
	.end_amdhsa_kernel
	.text
.Lfunc_end10:
	.size	naive_conv_ab_packed_fwd_nchw_int8_t_int32_t_float, .Lfunc_end10-naive_conv_ab_packed_fwd_nchw_int8_t_int32_t_float
                                        ; -- End function
	.set naive_conv_ab_packed_fwd_nchw_int8_t_int32_t_float.num_vgpr, 14
	.set naive_conv_ab_packed_fwd_nchw_int8_t_int32_t_float.num_agpr, 0
	.set naive_conv_ab_packed_fwd_nchw_int8_t_int32_t_float.numbered_sgpr, 52
	.set naive_conv_ab_packed_fwd_nchw_int8_t_int32_t_float.num_named_barrier, 0
	.set naive_conv_ab_packed_fwd_nchw_int8_t_int32_t_float.private_seg_size, 0
	.set naive_conv_ab_packed_fwd_nchw_int8_t_int32_t_float.uses_vcc, 1
	.set naive_conv_ab_packed_fwd_nchw_int8_t_int32_t_float.uses_flat_scratch, 0
	.set naive_conv_ab_packed_fwd_nchw_int8_t_int32_t_float.has_dyn_sized_stack, 0
	.set naive_conv_ab_packed_fwd_nchw_int8_t_int32_t_float.has_recursion, 0
	.set naive_conv_ab_packed_fwd_nchw_int8_t_int32_t_float.has_indirect_call, 0
	.section	.AMDGPU.csdata,"",@progbits
; Kernel info:
; codeLenInByte = 1320
; TotalNumSgprs: 54
; NumVgprs: 14
; ScratchSize: 0
; MemoryBound: 0
; FloatMode: 240
; IeeeMode: 1
; LDSByteSize: 0 bytes/workgroup (compile time only)
; SGPRBlocks: 0
; VGPRBlocks: 0
; NumSGPRsForWavesPerEU: 54
; NumVGPRsForWavesPerEU: 14
; NamedBarCnt: 0
; Occupancy: 16
; WaveLimiterHint : 0
; COMPUTE_PGM_RSRC2:SCRATCH_EN: 0
; COMPUTE_PGM_RSRC2:USER_SGPR: 2
; COMPUTE_PGM_RSRC2:TRAP_HANDLER: 0
; COMPUTE_PGM_RSRC2:TGID_X_EN: 1
; COMPUTE_PGM_RSRC2:TGID_Y_EN: 0
; COMPUTE_PGM_RSRC2:TGID_Z_EN: 0
; COMPUTE_PGM_RSRC2:TIDIG_COMP_CNT: 0
	.text
	.protected	naive_conv_ab_nonpacked_fwd_nchw_int8_t_int32_t_float ; -- Begin function naive_conv_ab_nonpacked_fwd_nchw_int8_t_int32_t_float
	.globl	naive_conv_ab_nonpacked_fwd_nchw_int8_t_int32_t_float
	.p2align	8
	.type	naive_conv_ab_nonpacked_fwd_nchw_int8_t_int32_t_float,@function
naive_conv_ab_nonpacked_fwd_nchw_int8_t_int32_t_float: ; @naive_conv_ab_nonpacked_fwd_nchw_int8_t_int32_t_float
; %bb.0:
	s_load_b256 s[20:27], s[0:1], 0xa0
	s_bfe_u32 s2, ttmp6, 0x4000c
	s_and_b32 s3, ttmp6, 15
	s_add_co_i32 s2, s2, 1
	s_getreg_b32 s4, hwreg(HW_REG_IB_STS2, 6, 4)
	s_mul_i32 s2, ttmp9, s2
	s_mov_b32 s11, exec_lo
	s_add_co_i32 s3, s3, s2
	s_cmp_eq_u32 s4, 0
	s_cselect_b32 s4, ttmp9, s3
	s_wait_kmcnt 0x0
	s_abs_i32 s3, s23
	s_mul_i32 s25, s26, s25
	s_cvt_f32_u32 s2, s3
	s_delay_alu instid0(SALU_CYCLE_3) | instskip(SKIP_1) | instid1(TRANS32_DEP_1)
	v_rcp_iflag_f32_e32 v1, s2
	v_nop
	v_readfirstlane_b32 s2, v1
	s_mul_f32 s2, s2, 0x4f7ffffe
	s_delay_alu instid0(SALU_CYCLE_3) | instskip(SKIP_1) | instid1(SALU_CYCLE_2)
	s_cvt_u32_f32 s5, s2
	s_sub_co_i32 s2, 0, s3
	s_mul_i32 s2, s2, s5
	s_delay_alu instid0(SALU_CYCLE_1) | instskip(SKIP_2) | instid1(SALU_CYCLE_1)
	s_mul_hi_u32 s6, s5, s2
	s_abs_i32 s2, s4
	s_add_co_i32 s5, s5, s6
	s_mul_hi_u32 s5, s2, s5
	s_delay_alu instid0(SALU_CYCLE_1) | instskip(SKIP_2) | instid1(SALU_CYCLE_1)
	s_mul_i32 s6, s5, s3
	s_add_co_i32 s7, s5, 1
	s_sub_co_i32 s6, s2, s6
	s_sub_co_i32 s8, s6, s3
	s_cmp_ge_u32 s6, s3
	s_cselect_b32 s5, s7, s5
	s_cselect_b32 s6, s8, s6
	s_add_co_i32 s8, s5, 1
	s_cmp_ge_u32 s6, s3
	s_mul_i32 s7, s23, s22
	s_cselect_b32 s9, s8, s5
	s_abs_i32 s6, s22
	s_abs_i32 s5, s7
	s_cvt_f32_u32 s3, s6
	s_cvt_f32_u32 s8, s5
	s_delay_alu instid0(SALU_CYCLE_2) | instskip(NEXT) | instid1(SALU_CYCLE_2)
	v_rcp_iflag_f32_e32 v1, s3
	v_rcp_iflag_f32_e32 v2, s8
	s_mov_b32 s3, 0
	s_delay_alu instid0(TRANS32_DEP_2) | instskip(NEXT) | instid1(TRANS32_DEP_1)
	v_readfirstlane_b32 s10, v1
	v_readfirstlane_b32 s8, v2
	v_cmpx_gt_i32_e64 s25, v0
	s_cbranch_execz .LBB11_16
; %bb.1:
	s_ashr_i32 s14, s4, 31
	s_ashr_i32 s11, s23, 31
	s_mul_f32 s10, s10, 0x4f7ffffe
	s_xor_b32 s11, s14, s11
	s_sub_co_i32 s16, 0, s5
	s_xor_b32 s9, s9, s11
	s_cvt_u32_f32 s10, s10
	s_sub_co_i32 s12, s9, s11
	s_sub_co_i32 s9, 0, s6
	s_mul_f32 s11, s8, 0x4f7ffffe
	s_mul_i32 s9, s9, s10
	s_abs_i32 s8, s12
	s_mul_hi_u32 s9, s10, s9
	s_cvt_u32_f32 s13, s11
	s_add_co_i32 s10, s10, s9
	s_mov_b32 s9, s3
	s_mov_b32 s11, s3
	s_mul_i32 s16, s16, s13
	s_mul_u64 s[10:11], s[8:9], s[10:11]
	s_mul_hi_u32 s9, s13, s16
	s_ashr_i32 s16, s7, 31
	s_mul_i32 s7, s11, s6
	s_ashr_i32 s15, s12, 31
	s_mul_i32 s12, s12, s23
	s_sub_co_i32 s7, s8, s7
	s_add_co_i32 s10, s13, s9
	s_sub_co_i32 s22, s4, s12
	s_sub_co_i32 s4, s7, s6
	s_cmp_ge_u32 s7, s6
	s_mov_b32 s11, s3
	s_cselect_b32 s4, s4, s7
	s_load_b256 s[36:43], s[0:1], 0xc0
	s_sub_co_i32 s7, s4, s6
	s_cmp_ge_u32 s4, s6
	s_load_b256 s[52:59], s[0:1], 0x0
	s_cselect_b32 s4, s7, s4
	s_mul_u64 s[6:7], s[2:3], s[10:11]
	s_xor_b32 s4, s4, s15
	s_clause 0x1
	s_load_b64 s[12:13], s[0:1], 0x98
	s_load_b128 s[8:11], s[0:1], 0x88
	s_sub_co_i32 s28, s4, s15
	s_mul_i32 s4, s7, s5
	s_xor_b32 s6, s14, s16
	s_sub_co_i32 s2, s2, s4
	s_add_co_i32 s4, s7, 1
	s_sub_co_i32 s14, s2, s5
	s_cmp_ge_u32 s2, s5
	s_load_b256 s[44:51], s[0:1], 0x68
	s_cselect_b32 s4, s4, s7
	s_cselect_b32 s2, s14, s2
	s_add_co_i32 s7, s4, 1
	s_cmp_ge_u32 s2, s5
	s_load_b64 s[66:67], s[0:1], 0x20
	s_cselect_b32 s2, s7, s4
	s_ashr_i32 s29, s28, 31
	s_xor_b32 s2, s2, s6
	s_ashr_i32 s23, s22, 31
	s_sub_co_i32 s30, s2, s6
	s_wait_kmcnt 0x0
	s_mul_u64 s[4:5], s[12:13], s[28:29]
	s_ashr_i32 s31, s30, 31
	s_mul_u64 s[8:9], s[8:9], s[22:23]
	s_mul_u64 s[6:7], s[10:11], s[30:31]
	s_lshl_b64 s[34:35], s[4:5], 2
	s_lshl_b64 s[62:63], s[6:7], 2
	;; [unrolled: 1-line block ×3, first 2 shown]
	s_load_b512 s[4:19], s[0:1], 0x28
	s_cmp_gt_i32 s24, 0
	v_cmp_neq_f64_e64 s68, s[56:57], 1.0
	s_cselect_b32 s33, -1, 0
	s_cmp_gt_i32 s41, 0
	v_cmp_neq_f64_e64 s69, s[58:59], 0
	s_cselect_b32 s43, -1, 0
	s_cmp_gt_i32 s42, 0
	v_cvt_i32_f64_e32 v1, s[56:57]
	s_cselect_b32 s60, -1, 0
	s_abs_i32 s61, s26
	v_cvt_i32_f64_e32 v10, s[58:59]
	s_cvt_f32_u32 s2, s61
	v_mov_b32_e32 v3, 0
	s_delay_alu instid0(SALU_CYCLE_2)
	v_rcp_iflag_f32_e32 v2, s2
	s_load_b32 s2, s[0:1], 0xec
	s_wait_kmcnt 0x0
	s_mul_u64 s[0:1], s[12:13], s[28:29]
	s_mul_u64 s[10:11], s[10:11], s[30:31]
	s_add_nc_u64 s[0:1], s[52:53], s[0:1]
	v_nop
	v_readfirstlane_b32 s12, v2
	s_mul_u64 s[28:29], s[46:47], s[30:31]
	s_mul_u64 s[30:31], s[44:45], s[22:23]
	s_add_nc_u64 s[10:11], s[0:1], s[10:11]
	s_add_nc_u64 s[0:1], s[66:67], s[34:35]
	s_mul_f32 s12, s12, 0x4f7ffffe
	s_sub_co_i32 s23, 0, s61
	s_add_nc_u64 s[0:1], s[0:1], s[62:63]
	s_add_nc_u64 s[28:29], s[30:31], s[28:29]
	s_cvt_u32_f32 s22, s12
	s_add_nc_u64 s[12:13], s[0:1], s[64:65]
	s_ashr_i32 s52, s26, 31
	s_add_nc_u64 s[28:29], s[54:55], s[28:29]
	s_mul_i32 s23, s23, s22
	s_and_b32 s1, s2, 0xffff
	s_mul_hi_u32 s0, s22, s23
	s_or_b32 s53, s68, s69
	s_add_co_i32 s22, s22, s0
	s_mov_b32 s23, s3
	s_mov_b32 s54, 0
	s_branch .LBB11_3
.LBB11_2:                               ;   in Loop: Header=BB11_3 Depth=1
	v_add_nc_u32_e32 v0, s1, v0
	s_delay_alu instid0(VALU_DEP_2) | instskip(NEXT) | instid1(VALU_DEP_2)
	v_cvt_f32_i32_e32 v2, v2
	v_cmp_le_i32_e32 vcc_lo, s25, v0
	global_store_b32 v[4:5], v2, off
	s_or_b32 s54, vcc_lo, s54
	s_wait_xcnt 0x0
	s_and_not1_b32 exec_lo, exec_lo, s54
	s_cbranch_execz .LBB11_16
.LBB11_3:                               ; =>This Loop Header: Depth=1
                                        ;     Child Loop BB11_6 Depth 2
                                        ;       Child Loop BB11_9 Depth 3
                                        ;         Child Loop BB11_12 Depth 4
	v_sub_nc_u32_e32 v2, 0, v0
	s_delay_alu instid0(VALU_DEP_1) | instskip(NEXT) | instid1(VALU_DEP_1)
	v_max_i32_e32 v2, v0, v2
	v_mul_u64_e32 v[4:5], s[22:23], v[2:3]
	s_delay_alu instid0(VALU_DEP_1) | instskip(NEXT) | instid1(VALU_DEP_1)
	v_mul_lo_u32 v4, v5, s61
	v_dual_sub_nc_u32 v2, v2, v4 :: v_dual_add_nc_u32 v4, 1, v5
	s_delay_alu instid0(VALU_DEP_1) | instskip(SKIP_1) | instid1(VALU_DEP_3)
	v_subrev_nc_u32_e32 v6, s61, v2
	v_cmp_le_u32_e32 vcc_lo, s61, v2
	v_cndmask_b32_e32 v4, v5, v4, vcc_lo
	s_delay_alu instid0(VALU_DEP_3) | instskip(NEXT) | instid1(VALU_DEP_2)
	v_dual_cndmask_b32 v2, v2, v6 :: v_dual_ashrrev_i32 v5, 31, v0
	v_add_nc_u32_e32 v6, 1, v4
	s_delay_alu instid0(VALU_DEP_2) | instskip(NEXT) | instid1(VALU_DEP_2)
	v_cmp_le_u32_e32 vcc_lo, s61, v2
	v_dual_cndmask_b32 v2, v4, v6, vcc_lo :: v_dual_bitop2_b32 v5, s52, v5 bitop3:0x14
	s_and_not1_b32 vcc_lo, exec_lo, s33
	s_delay_alu instid0(VALU_DEP_1) | instskip(NEXT) | instid1(VALU_DEP_1)
	v_xor_b32_e32 v2, v2, v5
	v_sub_nc_u32_e32 v4, v2, v5
	s_delay_alu instid0(VALU_DEP_1) | instskip(NEXT) | instid1(VALU_DEP_1)
	v_mul_lo_u32 v2, v4, s26
	v_dual_sub_nc_u32 v6, v0, v2 :: v_dual_mov_b32 v2, 0
	s_cbranch_vccnz .LBB11_14
; %bb.4:                                ;   in Loop: Header=BB11_3 Depth=1
	v_mul_lo_u32 v2, v4, s27
	s_delay_alu instid0(VALU_DEP_2) | instskip(SKIP_2) | instid1(VALU_DEP_2)
	v_mul_lo_u32 v7, v6, s36
	s_mov_b32 s2, 0
	s_mov_b64 s[30:31], s[28:29]
	v_subrev_nc_u32_e32 v5, s39, v2
	s_delay_alu instid0(VALU_DEP_2)
	v_subrev_nc_u32_e32 v7, s40, v7
	v_mov_b32_e32 v2, 0
	s_branch .LBB11_6
.LBB11_5:                               ;   in Loop: Header=BB11_6 Depth=2
	s_add_co_i32 s2, s2, 1
	s_add_nc_u64 s[30:31], s[30:31], s[18:19]
	s_cmp_eq_u32 s2, s24
	s_cbranch_scc1 .LBB11_14
.LBB11_6:                               ;   Parent Loop BB11_3 Depth=1
                                        ; =>  This Loop Header: Depth=2
                                        ;       Child Loop BB11_9 Depth 3
                                        ;         Child Loop BB11_12 Depth 4
	s_and_not1_b32 vcc_lo, exec_lo, s43
	s_cbranch_vccnz .LBB11_5
; %bb.7:                                ;   in Loop: Header=BB11_6 Depth=2
	s_mul_u64 s[34:35], s[8:9], s[2:3]
	s_mov_b32 s55, 0
	s_add_nc_u64 s[34:35], s[10:11], s[34:35]
	s_mov_b64 s[44:45], s[30:31]
	s_branch .LBB11_9
.LBB11_8:                               ;   in Loop: Header=BB11_9 Depth=3
	s_add_co_i32 s55, s55, 1
	s_add_nc_u64 s[44:45], s[44:45], s[16:17]
	s_cmp_eq_u32 s55, s41
	s_cbranch_scc1 .LBB11_5
.LBB11_9:                               ;   Parent Loop BB11_3 Depth=1
                                        ;     Parent Loop BB11_6 Depth=2
                                        ; =>    This Loop Header: Depth=3
                                        ;         Child Loop BB11_12 Depth 4
	s_and_not1_b32 vcc_lo, exec_lo, s60
	s_cbranch_vccnz .LBB11_8
; %bb.10:                               ;   in Loop: Header=BB11_9 Depth=3
	v_mad_u32 v11, s55, s37, v5
	s_mov_b64 s[46:47], s[44:45]
	s_mov_b32 s57, s42
	s_delay_alu instid0(VALU_DEP_1)
	v_mad_nc_u64_u32 v[8:9], s6, v11, s[34:35]
	v_cmp_gt_i32_e32 vcc_lo, 0, v11
	v_cmp_le_i32_e64 s0, s20, v11
	s_or_b32 s56, vcc_lo, s0
	v_mad_u32 v9, s7, v11, v9
	v_mov_b32_e32 v11, v7
	s_branch .LBB11_12
.LBB11_11:                              ;   in Loop: Header=BB11_12 Depth=4
	s_wait_xcnt 0x0
	s_or_b32 exec_lo, exec_lo, s0
	v_add_nc_u32_e32 v11, s38, v11
	s_add_co_i32 s57, s57, -1
	s_add_nc_u64 s[46:47], s[46:47], s[14:15]
	s_cmp_eq_u32 s57, 0
	s_cbranch_scc1 .LBB11_8
.LBB11_12:                              ;   Parent Loop BB11_3 Depth=1
                                        ;     Parent Loop BB11_6 Depth=2
                                        ;       Parent Loop BB11_9 Depth=3
                                        ; =>      This Inner Loop Header: Depth=4
	s_delay_alu instid0(VALU_DEP_1) | instskip(SKIP_2) | instid1(SALU_CYCLE_1)
	v_cmp_gt_i32_e32 vcc_lo, 0, v11
	v_cmp_le_i32_e64 s0, s21, v11
	s_or_b32 s0, vcc_lo, s0
	s_nor_b32 s58, s56, s0
	s_delay_alu instid0(SALU_CYCLE_1)
	s_and_saveexec_b32 s0, s58
	s_cbranch_execz .LBB11_11
; %bb.13:                               ;   in Loop: Header=BB11_12 Depth=4
	v_mad_nc_u64_u32 v[12:13], s4, v11, v[8:9]
	s_load_i8 s58, s[46:47], 0x0
	s_delay_alu instid0(VALU_DEP_1)
	v_mad_u32 v13, s5, v11, v13
	global_load_i8 v12, v[12:13], off
	s_wait_loadcnt 0x0
	s_wait_kmcnt 0x0
	v_mad_i32_i24 v2, s58, v12, v2
	s_branch .LBB11_11
.LBB11_14:                              ;   in Loop: Header=BB11_3 Depth=1
	s_delay_alu instid0(VALU_DEP_1) | instskip(SKIP_1) | instid1(VALU_DEP_1)
	v_dual_ashrrev_i32 v7, 31, v6 :: v_dual_ashrrev_i32 v5, 31, v4
	s_and_not1_b32 vcc_lo, exec_lo, s53
	v_mul_u64_e32 v[6:7], s[48:49], v[6:7]
	s_delay_alu instid0(VALU_DEP_2) | instskip(NEXT) | instid1(VALU_DEP_2)
	v_mul_u64_e32 v[4:5], s[50:51], v[4:5]
	v_lshl_add_u64 v[6:7], v[6:7], 2, s[12:13]
	s_delay_alu instid0(VALU_DEP_1)
	v_lshl_add_u64 v[4:5], v[4:5], 2, v[6:7]
	s_cbranch_vccnz .LBB11_2
; %bb.15:                               ;   in Loop: Header=BB11_3 Depth=1
	global_load_b32 v6, v[4:5], off
	v_mul_lo_u32 v2, v2, v1
	s_wait_loadcnt 0x0
	v_cvt_i32_f32_e32 v6, v6
	s_delay_alu instid0(VALU_DEP_1)
	v_mad_u32 v2, v6, v10, v2
	s_branch .LBB11_2
.LBB11_16:
	s_endpgm
	.section	.rodata,"a",@progbits
	.p2align	6, 0x0
	.amdhsa_kernel naive_conv_ab_nonpacked_fwd_nchw_int8_t_int32_t_float
		.amdhsa_group_segment_fixed_size 0
		.amdhsa_private_segment_fixed_size 0
		.amdhsa_kernarg_size 480
		.amdhsa_user_sgpr_count 2
		.amdhsa_user_sgpr_dispatch_ptr 0
		.amdhsa_user_sgpr_queue_ptr 0
		.amdhsa_user_sgpr_kernarg_segment_ptr 1
		.amdhsa_user_sgpr_dispatch_id 0
		.amdhsa_user_sgpr_kernarg_preload_length 0
		.amdhsa_user_sgpr_kernarg_preload_offset 0
		.amdhsa_user_sgpr_private_segment_size 0
		.amdhsa_wavefront_size32 1
		.amdhsa_uses_dynamic_stack 0
		.amdhsa_enable_private_segment 0
		.amdhsa_system_sgpr_workgroup_id_x 1
		.amdhsa_system_sgpr_workgroup_id_y 0
		.amdhsa_system_sgpr_workgroup_id_z 0
		.amdhsa_system_sgpr_workgroup_info 0
		.amdhsa_system_vgpr_workitem_id 0
		.amdhsa_next_free_vgpr 14
		.amdhsa_next_free_sgpr 70
		.amdhsa_named_barrier_count 0
		.amdhsa_reserve_vcc 1
		.amdhsa_float_round_mode_32 0
		.amdhsa_float_round_mode_16_64 0
		.amdhsa_float_denorm_mode_32 3
		.amdhsa_float_denorm_mode_16_64 3
		.amdhsa_fp16_overflow 0
		.amdhsa_memory_ordered 1
		.amdhsa_forward_progress 1
		.amdhsa_inst_pref_size 11
		.amdhsa_round_robin_scheduling 0
		.amdhsa_exception_fp_ieee_invalid_op 0
		.amdhsa_exception_fp_denorm_src 0
		.amdhsa_exception_fp_ieee_div_zero 0
		.amdhsa_exception_fp_ieee_overflow 0
		.amdhsa_exception_fp_ieee_underflow 0
		.amdhsa_exception_fp_ieee_inexact 0
		.amdhsa_exception_int_div_zero 0
	.end_amdhsa_kernel
	.text
.Lfunc_end11:
	.size	naive_conv_ab_nonpacked_fwd_nchw_int8_t_int32_t_float, .Lfunc_end11-naive_conv_ab_nonpacked_fwd_nchw_int8_t_int32_t_float
                                        ; -- End function
	.set naive_conv_ab_nonpacked_fwd_nchw_int8_t_int32_t_float.num_vgpr, 14
	.set naive_conv_ab_nonpacked_fwd_nchw_int8_t_int32_t_float.num_agpr, 0
	.set naive_conv_ab_nonpacked_fwd_nchw_int8_t_int32_t_float.numbered_sgpr, 70
	.set naive_conv_ab_nonpacked_fwd_nchw_int8_t_int32_t_float.num_named_barrier, 0
	.set naive_conv_ab_nonpacked_fwd_nchw_int8_t_int32_t_float.private_seg_size, 0
	.set naive_conv_ab_nonpacked_fwd_nchw_int8_t_int32_t_float.uses_vcc, 1
	.set naive_conv_ab_nonpacked_fwd_nchw_int8_t_int32_t_float.uses_flat_scratch, 0
	.set naive_conv_ab_nonpacked_fwd_nchw_int8_t_int32_t_float.has_dyn_sized_stack, 0
	.set naive_conv_ab_nonpacked_fwd_nchw_int8_t_int32_t_float.has_recursion, 0
	.set naive_conv_ab_nonpacked_fwd_nchw_int8_t_int32_t_float.has_indirect_call, 0
	.section	.AMDGPU.csdata,"",@progbits
; Kernel info:
; codeLenInByte = 1308
; TotalNumSgprs: 72
; NumVgprs: 14
; ScratchSize: 0
; MemoryBound: 0
; FloatMode: 240
; IeeeMode: 1
; LDSByteSize: 0 bytes/workgroup (compile time only)
; SGPRBlocks: 0
; VGPRBlocks: 0
; NumSGPRsForWavesPerEU: 72
; NumVGPRsForWavesPerEU: 14
; NamedBarCnt: 0
; Occupancy: 16
; WaveLimiterHint : 0
; COMPUTE_PGM_RSRC2:SCRATCH_EN: 0
; COMPUTE_PGM_RSRC2:USER_SGPR: 2
; COMPUTE_PGM_RSRC2:TRAP_HANDLER: 0
; COMPUTE_PGM_RSRC2:TGID_X_EN: 1
; COMPUTE_PGM_RSRC2:TGID_Y_EN: 0
; COMPUTE_PGM_RSRC2:TGID_Z_EN: 0
; COMPUTE_PGM_RSRC2:TIDIG_COMP_CNT: 0
	.text
	.protected	naive_conv_ab_packed_fwd_nhwc_float_double_float ; -- Begin function naive_conv_ab_packed_fwd_nhwc_float_double_float
	.globl	naive_conv_ab_packed_fwd_nhwc_float_double_float
	.p2align	8
	.type	naive_conv_ab_packed_fwd_nhwc_float_double_float,@function
naive_conv_ab_packed_fwd_nhwc_float_double_float: ; @naive_conv_ab_packed_fwd_nhwc_float_double_float
; %bb.0:
	s_load_b512 s[4:19], s[0:1], 0xa0
	s_bfe_u32 s2, ttmp6, 0x4000c
	s_and_b32 s3, ttmp6, 15
	s_add_co_i32 s2, s2, 1
	s_getreg_b32 s20, hwreg(HW_REG_IB_STS2, 6, 4)
	s_mul_i32 s2, ttmp9, s2
	s_mov_b32 s29, 0
	s_add_co_i32 s3, s3, s2
	s_cmp_eq_u32 s20, 0
	s_cselect_b32 s30, ttmp9, s3
	s_delay_alu instid0(SALU_CYCLE_1) | instskip(SKIP_2) | instid1(SALU_CYCLE_1)
	s_abs_i32 s21, s30
	s_wait_kmcnt 0x0
	s_abs_i32 s2, s9
	s_cvt_f32_u32 s3, s2
	s_sub_co_i32 s20, 0, s2
	s_delay_alu instid0(SALU_CYCLE_2) | instskip(SKIP_1) | instid1(TRANS32_DEP_1)
	v_rcp_iflag_f32_e32 v1, s3
	v_nop
	v_readfirstlane_b32 s3, v1
	s_mul_f32 s3, s3, 0x4f7ffffe
	s_delay_alu instid0(SALU_CYCLE_3) | instskip(NEXT) | instid1(SALU_CYCLE_3)
	s_cvt_u32_f32 s3, s3
	s_mul_i32 s20, s20, s3
	s_delay_alu instid0(SALU_CYCLE_1) | instskip(NEXT) | instid1(SALU_CYCLE_1)
	s_mul_hi_u32 s20, s3, s20
	s_add_co_i32 s3, s3, s20
	s_delay_alu instid0(SALU_CYCLE_1) | instskip(NEXT) | instid1(SALU_CYCLE_1)
	s_mul_hi_u32 s3, s21, s3
	s_mul_i32 s20, s3, s2
	s_delay_alu instid0(SALU_CYCLE_1)
	s_sub_co_i32 s20, s21, s20
	s_add_co_i32 s21, s3, 1
	s_sub_co_i32 s22, s20, s2
	s_cmp_ge_u32 s20, s2
	s_cselect_b32 s3, s21, s3
	s_cselect_b32 s20, s22, s20
	s_add_co_i32 s21, s3, 1
	s_cmp_ge_u32 s20, s2
	s_cselect_b32 s28, s21, s3
	s_abs_i32 s3, s6
	s_mov_b32 s21, exec_lo
	s_cvt_f32_u32 s2, s3
	s_delay_alu instid0(SALU_CYCLE_3) | instskip(SKIP_1) | instid1(SALU_CYCLE_1)
	v_rcp_iflag_f32_e32 v1, s2
	s_mul_i32 s2, s19, s7
	s_mul_i32 s6, s2, s10
	v_nop
	s_delay_alu instid0(TRANS32_DEP_1)
	v_readfirstlane_b32 s20, v1
	v_cmpx_gt_i32_e64 s6, v0
	s_cbranch_execz .LBB12_18
; %bb.1:
	s_mul_f32 s31, s20, 0x4f7ffffe
	s_xor_b32 s33, s30, s9
	s_sub_co_i32 s34, 0, s3
	s_ashr_i32 s33, s33, 31
	s_cvt_u32_f32 s31, s31
	s_xor_b32 s28, s28, s33
	s_mov_b32 s35, s29
	s_sub_co_i32 s33, s28, s33
	s_mul_i32 s34, s34, s31
	s_abs_i32 s28, s33
	s_mul_hi_u32 s34, s31, s34
	s_load_b256 s[20:27], s[0:1], 0x0
	s_add_co_i32 s34, s31, s34
	s_mov_b32 s40, s9
	s_mul_u64 s[34:35], s[28:29], s[34:35]
	s_ashr_i32 s34, s33, 31
	s_mul_i32 s31, s35, s3
	s_mul_i32 s33, s33, s9
	s_sub_co_i32 s28, s28, s31
	s_sub_co_i32 s38, s30, s33
	;; [unrolled: 1-line block ×3, first 2 shown]
	s_cmp_ge_u32 s28, s3
	s_mul_i32 s33, s19, s8
	s_cselect_b32 s19, s30, s28
	s_mov_b32 s42, s10
	s_sub_co_i32 s28, s19, s3
	s_cmp_ge_u32 s19, s3
	s_load_b64 s[36:37], s[0:1], 0x20
	s_cselect_b32 s3, s28, s19
	s_ashr_i32 s41, s9, 31
	s_xor_b32 s3, s3, s34
	s_ashr_i32 s43, s10, 31
	s_sub_co_i32 s44, s3, s34
	s_ashr_i32 s39, s38, 31
	s_ashr_i32 s45, s44, 31
	;; [unrolled: 1-line block ×3, first 2 shown]
	s_mul_u64 s[40:41], s[44:45], s[40:41]
	s_mul_u64 s[42:43], s[2:3], s[42:43]
	s_add_nc_u64 s[40:41], s[40:41], s[38:39]
	s_wait_kmcnt 0x0
	v_cmp_neq_f64_e64 s28, s[24:25], 1.0
	v_cmp_neq_f64_e64 s39, s[26:27], 0
	s_mul_u64 s[40:41], s[42:43], s[40:41]
	s_ashr_i32 s31, s4, 31
	s_ashr_i32 s35, s5, 31
	;; [unrolled: 1-line block ×3, first 2 shown]
	s_lshl_b64 s[40:41], s[40:41], 2
	s_cmp_lt_i32 s17, 1
	s_mul_i32 s9, s38, s11
	s_cselect_b32 s51, -1, 0
	s_sub_co_i32 s15, s9, s15
	s_cmp_gt_i32 s18, 0
	s_load_b32 s0, s[0:1], 0xec
	s_cselect_b32 s52, -1, 0
	s_cmp_gt_i32 s8, 0
	s_mov_b32 s30, s4
	s_cselect_b32 s53, -1, 0
	s_abs_i32 s54, s2
	s_wait_xcnt 0x0
	s_abs_i32 s1, s7
	s_cvt_f32_u32 s9, s54
	s_cvt_f32_u32 s10, s1
	s_mov_b32 s34, s5
	s_add_nc_u64 s[4:5], s[36:37], s[40:41]
	v_rcp_iflag_f32_e32 v1, s9
	v_rcp_iflag_f32_e32 v2, s10
	s_ashr_i32 s9, s8, 31
	s_ashr_i32 s47, s17, 31
	s_mov_b32 s46, s17
	s_mul_u64 s[42:43], s[34:35], s[30:31]
	v_mov_b32_e32 v3, 0
	v_readfirstlane_b32 s19, v1
	v_readfirstlane_b32 s36, v2
	s_wait_kmcnt 0x0
	s_and_b32 s56, s0, 0xffff
	s_or_b32 s55, s28, s39
	s_sub_co_i32 s0, 0, s54
	s_mul_f32 s37, s19, 0x4f7ffffe
	s_mul_f32 s28, s36, 0x4f7ffffe
	s_ashr_i32 s19, s18, 31
	s_mul_u64 s[42:43], s[42:43], s[44:45]
	s_cvt_u32_f32 s36, s37
	s_cvt_u32_f32 s28, s28
	s_sub_co_i32 s37, 0, s1
	s_mul_u64 s[48:49], s[18:19], s[8:9]
	s_mul_i32 s0, s0, s36
	s_mul_i32 s37, s37, s28
	s_mul_hi_u32 s0, s36, s0
	s_mul_u64 s[44:45], s[48:49], s[46:47]
	s_add_co_i32 s36, s36, s0
	s_mul_hi_u32 s0, s28, s37
	s_ashr_i32 s11, s7, 31
	s_mov_b32 s10, s7
	s_mov_b32 s37, s29
	s_add_co_i32 s38, s28, s0
	s_mov_b32 s39, s29
	s_lshl_b64 s[40:41], s[8:9], 2
	s_lshl_b64 s[42:43], s[42:43], 2
	;; [unrolled: 1-line block ×4, first 2 shown]
	s_mov_b32 s9, 0
	s_branch .LBB12_3
.LBB12_2:                               ;   in Loop: Header=BB12_3 Depth=1
	s_delay_alu instid0(VALU_DEP_1) | instskip(SKIP_1) | instid1(VALU_DEP_1)
	v_cvt_f32_f64_e32 v1, v[10:11]
	v_add_nc_u32_e32 v0, s56, v0
	v_cmp_le_i32_e32 vcc_lo, s6, v0
	s_or_b32 s9, vcc_lo, s9
	global_store_b32 v[4:5], v1, off
	s_wait_xcnt 0x0
	s_and_not1_b32 exec_lo, exec_lo, s9
	s_cbranch_execz .LBB12_18
.LBB12_3:                               ; =>This Loop Header: Depth=1
                                        ;     Child Loop BB12_8 Depth 2
                                        ;       Child Loop BB12_11 Depth 3
                                        ;         Child Loop BB12_14 Depth 4
	v_sub_nc_u32_e32 v1, 0, v0
	s_mov_b32 s0, -1
                                        ; implicit-def: $vgpr8_vgpr9
	s_delay_alu instid0(VALU_DEP_1) | instskip(NEXT) | instid1(VALU_DEP_1)
	v_max_i32_e32 v2, v0, v1
	v_mul_u64_e32 v[4:5], s[36:37], v[2:3]
	s_delay_alu instid0(VALU_DEP_1) | instskip(NEXT) | instid1(VALU_DEP_1)
	v_mul_lo_u32 v1, v5, s54
	v_sub_nc_u32_e32 v1, v2, v1
	v_add_nc_u32_e32 v2, 1, v5
	s_delay_alu instid0(VALU_DEP_2) | instskip(NEXT) | instid1(VALU_DEP_2)
	v_cmp_le_u32_e32 vcc_lo, s54, v1
	v_cndmask_b32_e32 v2, v5, v2, vcc_lo
	v_subrev_nc_u32_e32 v4, s54, v1
	v_ashrrev_i32_e32 v5, 31, v0
	s_delay_alu instid0(VALU_DEP_2) | instskip(NEXT) | instid1(VALU_DEP_1)
	v_dual_cndmask_b32 v1, v1, v4 :: v_dual_add_nc_u32 v4, 1, v2
	v_cmp_le_u32_e32 vcc_lo, s54, v1
	s_delay_alu instid0(VALU_DEP_2) | instskip(NEXT) | instid1(VALU_DEP_1)
	v_dual_cndmask_b32 v1, v2, v4, vcc_lo :: v_dual_bitop2_b32 v5, s3, v5 bitop3:0x14
	v_xor_b32_e32 v1, v1, v5
	s_delay_alu instid0(VALU_DEP_1) | instskip(NEXT) | instid1(VALU_DEP_1)
	v_sub_nc_u32_e32 v4, v1, v5
	v_mul_lo_u32 v1, v4, s2
	s_delay_alu instid0(VALU_DEP_1) | instskip(NEXT) | instid1(VALU_DEP_1)
	v_sub_nc_u32_e32 v12, v0, v1
	v_sub_nc_u32_e32 v1, 0, v12
	s_delay_alu instid0(VALU_DEP_1) | instskip(NEXT) | instid1(VALU_DEP_1)
	v_max_i32_e32 v2, v12, v1
	v_mul_u64_e32 v[6:7], s[38:39], v[2:3]
	s_delay_alu instid0(VALU_DEP_1) | instskip(NEXT) | instid1(VALU_DEP_1)
	v_mul_lo_u32 v1, v7, s1
	v_dual_sub_nc_u32 v1, v2, v1 :: v_dual_add_nc_u32 v2, 1, v7
	v_ashrrev_i32_e32 v13, 31, v12
	s_delay_alu instid0(VALU_DEP_2) | instskip(SKIP_1) | instid1(VALU_DEP_3)
	v_subrev_nc_u32_e32 v5, s1, v1
	v_cmp_le_u32_e32 vcc_lo, s1, v1
	v_dual_cndmask_b32 v2, v7, v2, vcc_lo :: v_dual_bitop2_b32 v6, s11, v13 bitop3:0x14
	s_delay_alu instid0(VALU_DEP_1) | instskip(NEXT) | instid1(VALU_DEP_1)
	v_dual_cndmask_b32 v1, v1, v5, vcc_lo :: v_dual_add_nc_u32 v5, 1, v2
	v_cmp_le_u32_e32 vcc_lo, s1, v1
	s_delay_alu instid0(VALU_DEP_2) | instskip(SKIP_1) | instid1(VALU_DEP_1)
	v_cndmask_b32_e32 v1, v2, v5, vcc_lo
	s_and_not1_b32 vcc_lo, exec_lo, s51
	v_xor_b32_e32 v1, v1, v6
	s_delay_alu instid0(VALU_DEP_1) | instskip(NEXT) | instid1(VALU_DEP_1)
	v_sub_nc_u32_e32 v16, v1, v6
	v_mul_lo_u32 v14, v16, s7
	s_delay_alu instid0(VALU_DEP_1) | instskip(NEXT) | instid1(VALU_DEP_1)
	v_sub_nc_u32_e32 v6, v12, v14
	v_dual_ashrrev_i32 v7, 31, v6 :: v_dual_ashrrev_i32 v17, 31, v16
	s_cbranch_vccnz .LBB12_5
; %bb.4:                                ;   in Loop: Header=BB12_3 Depth=1
	s_delay_alu instid0(VALU_DEP_1)
	v_mul_u64_e32 v[8:9], s[10:11], v[16:17]
	s_mov_b32 s0, 0
.LBB12_5:                               ;   in Loop: Header=BB12_3 Depth=1
	v_mov_b64_e32 v[10:11], 0
	s_and_not1_b32 vcc_lo, exec_lo, s0
	s_cbranch_vccnz .LBB12_16
; %bb.6:                                ;   in Loop: Header=BB12_3 Depth=1
	v_mul_u64_e32 v[8:9], s[10:11], v[16:17]
	v_ashrrev_i32_e32 v15, 31, v14
	v_mul_lo_u32 v5, v4, s12
	s_mov_b32 s19, 0
	s_mov_b32 s28, s15
	s_delay_alu instid0(VALU_DEP_3) | instskip(SKIP_1) | instid1(VALU_DEP_2)
	v_add_nc_u64_e32 v[10:11], v[8:9], v[12:13]
	v_mad_nc_u64_u32 v[12:13], s40, v16, s[20:21]
	v_sub_nc_u64_e32 v[10:11], v[10:11], v[14:15]
	s_delay_alu instid0(VALU_DEP_2) | instskip(NEXT) | instid1(VALU_DEP_2)
	v_mad_u32 v1, s41, v16, v13
	v_mad_nc_u64_u32 v[14:15], s44, v10, s[22:23]
	s_delay_alu instid0(VALU_DEP_2) | instskip(SKIP_1) | instid1(VALU_DEP_3)
	v_mad_u32 v13, s40, v17, v1
	v_subrev_nc_u32_e32 v1, s16, v5
	v_mad_u32 v2, s45, v10, v15
	s_delay_alu instid0(VALU_DEP_1)
	v_mad_u32 v15, s44, v11, v2
	v_mov_b64_e32 v[10:11], 0
	s_branch .LBB12_8
.LBB12_7:                               ;   in Loop: Header=BB12_8 Depth=2
	s_delay_alu instid0(VALU_DEP_1)
	v_add_nc_u64_e32 v[14:15], s[46:47], v[14:15]
	s_add_co_i32 s19, s19, 1
	s_add_co_i32 s28, s28, s13
	s_cmp_eq_u32 s19, s17
	s_cbranch_scc1 .LBB12_16
.LBB12_8:                               ;   Parent Loop BB12_3 Depth=1
                                        ; =>  This Loop Header: Depth=2
                                        ;       Child Loop BB12_11 Depth 3
                                        ;         Child Loop BB12_14 Depth 4
	s_and_not1_b32 vcc_lo, exec_lo, s52
	s_cbranch_vccnz .LBB12_7
; %bb.9:                                ;   in Loop: Header=BB12_8 Depth=2
	s_mul_i32 s0, s19, s13
	s_delay_alu instid0(VALU_DEP_1)
	v_mov_b64_e32 v[16:17], v[14:15]
	s_add_co_i32 s0, s0, s15
	v_mov_b32_e32 v2, v1
	s_cmp_lt_i32 s0, 0
	s_mul_u64 s[48:49], s[34:35], s[28:29]
	s_cselect_b32 s57, -1, 0
	s_cmp_ge_i32 s0, s30
	s_mov_b32 s31, 0
	s_cselect_b32 s0, -1, 0
	s_delay_alu instid0(SALU_CYCLE_1)
	s_or_b32 s57, s57, s0
	s_branch .LBB12_11
.LBB12_10:                              ;   in Loop: Header=BB12_11 Depth=3
	v_add_nc_u64_e32 v[16:17], s[40:41], v[16:17]
	v_add_nc_u32_e32 v2, s14, v2
	s_add_co_i32 s31, s31, 1
	s_delay_alu instid0(SALU_CYCLE_1)
	s_cmp_eq_u32 s31, s18
	s_cbranch_scc1 .LBB12_7
.LBB12_11:                              ;   Parent Loop BB12_3 Depth=1
                                        ;     Parent Loop BB12_8 Depth=2
                                        ; =>    This Loop Header: Depth=3
                                        ;         Child Loop BB12_14 Depth 4
	s_and_not1_b32 vcc_lo, exec_lo, s53
	s_cbranch_vccnz .LBB12_10
; %bb.12:                               ;   in Loop: Header=BB12_11 Depth=3
	v_add_nc_u64_e32 v[18:19], s[48:49], v[2:3]
	v_mad_u32 v5, s31, s14, v1
	s_mov_b32 s58, s8
	s_delay_alu instid0(VALU_DEP_2) | instskip(NEXT) | instid1(VALU_DEP_2)
	v_lshl_add_u64 v[20:21], v[18:19], 2, s[42:43]
	v_cmp_gt_i32_e32 vcc_lo, 0, v5
	s_delay_alu instid0(VALU_DEP_2) | instskip(SKIP_2) | instid1(SALU_CYCLE_1)
	v_mad_nc_u64_u32 v[18:19], s33, v20, v[12:13]
	v_cmp_le_i32_e64 s0, s34, v5
	s_or_b32 s0, vcc_lo, s0
	s_nor_b32 s0, s57, s0
	v_mad_u32 v19, s50, v20, v19
	s_delay_alu instid0(VALU_DEP_1)
	v_mad_u32 v19, s33, v21, v19
	v_mov_b64_e32 v[20:21], v[16:17]
	s_branch .LBB12_14
.LBB12_13:                              ;   in Loop: Header=BB12_14 Depth=4
	s_wait_xcnt 0x0
	s_or_b32 exec_lo, exec_lo, s59
	s_delay_alu instid0(VALU_DEP_2) | instskip(SKIP_2) | instid1(SALU_CYCLE_1)
	v_add_nc_u64_e32 v[18:19], 4, v[18:19]
	v_add_nc_u64_e32 v[20:21], 4, v[20:21]
	s_add_co_i32 s58, s58, -1
	s_cmp_eq_u32 s58, 0
	s_cbranch_scc1 .LBB12_10
.LBB12_14:                              ;   Parent Loop BB12_3 Depth=1
                                        ;     Parent Loop BB12_8 Depth=2
                                        ;       Parent Loop BB12_11 Depth=3
                                        ; =>      This Inner Loop Header: Depth=4
	s_and_saveexec_b32 s59, s0
	s_cbranch_execz .LBB12_13
; %bb.15:                               ;   in Loop: Header=BB12_14 Depth=4
	global_load_b32 v5, v[18:19], off
	global_load_b32 v24, v[20:21], off
	s_wait_loadcnt 0x1
	v_cvt_f64_f32_e32 v[22:23], v5
	s_wait_loadcnt 0x0
	v_cvt_f64_f32_e32 v[24:25], v24
	s_delay_alu instid0(VALU_DEP_1)
	v_fmac_f64_e32 v[10:11], v[22:23], v[24:25]
	s_branch .LBB12_13
.LBB12_16:                              ;   in Loop: Header=BB12_3 Depth=1
	v_ashrrev_i32_e32 v5, 31, v4
	s_and_not1_b32 vcc_lo, exec_lo, s55
	s_delay_alu instid0(VALU_DEP_1) | instskip(NEXT) | instid1(VALU_DEP_1)
	v_mul_u64_e32 v[4:5], s[2:3], v[4:5]
	v_lshl_add_u64 v[4:5], v[4:5], 2, s[4:5]
	s_delay_alu instid0(VALU_DEP_1) | instskip(NEXT) | instid1(VALU_DEP_1)
	v_lshl_add_u64 v[4:5], v[8:9], 2, v[4:5]
	v_lshl_add_u64 v[4:5], v[6:7], 2, v[4:5]
	s_cbranch_vccnz .LBB12_2
; %bb.17:                               ;   in Loop: Header=BB12_3 Depth=1
	global_load_b32 v1, v[4:5], off
	s_wait_loadcnt 0x0
	v_cvt_f64_f32_e32 v[6:7], v1
	s_delay_alu instid0(VALU_DEP_1) | instskip(NEXT) | instid1(VALU_DEP_1)
	v_mul_f64_e32 v[6:7], s[26:27], v[6:7]
	v_fmac_f64_e32 v[6:7], s[24:25], v[10:11]
	s_delay_alu instid0(VALU_DEP_1)
	v_mov_b64_e32 v[10:11], v[6:7]
	s_branch .LBB12_2
.LBB12_18:
	s_endpgm
	.section	.rodata,"a",@progbits
	.p2align	6, 0x0
	.amdhsa_kernel naive_conv_ab_packed_fwd_nhwc_float_double_float
		.amdhsa_group_segment_fixed_size 0
		.amdhsa_private_segment_fixed_size 0
		.amdhsa_kernarg_size 480
		.amdhsa_user_sgpr_count 2
		.amdhsa_user_sgpr_dispatch_ptr 0
		.amdhsa_user_sgpr_queue_ptr 0
		.amdhsa_user_sgpr_kernarg_segment_ptr 1
		.amdhsa_user_sgpr_dispatch_id 0
		.amdhsa_user_sgpr_kernarg_preload_length 0
		.amdhsa_user_sgpr_kernarg_preload_offset 0
		.amdhsa_user_sgpr_private_segment_size 0
		.amdhsa_wavefront_size32 1
		.amdhsa_uses_dynamic_stack 0
		.amdhsa_enable_private_segment 0
		.amdhsa_system_sgpr_workgroup_id_x 1
		.amdhsa_system_sgpr_workgroup_id_y 0
		.amdhsa_system_sgpr_workgroup_id_z 0
		.amdhsa_system_sgpr_workgroup_info 0
		.amdhsa_system_vgpr_workitem_id 0
		.amdhsa_next_free_vgpr 26
		.amdhsa_next_free_sgpr 60
		.amdhsa_named_barrier_count 0
		.amdhsa_reserve_vcc 1
		.amdhsa_float_round_mode_32 0
		.amdhsa_float_round_mode_16_64 0
		.amdhsa_float_denorm_mode_32 3
		.amdhsa_float_denorm_mode_16_64 3
		.amdhsa_fp16_overflow 0
		.amdhsa_memory_ordered 1
		.amdhsa_forward_progress 1
		.amdhsa_inst_pref_size 12
		.amdhsa_round_robin_scheduling 0
		.amdhsa_exception_fp_ieee_invalid_op 0
		.amdhsa_exception_fp_denorm_src 0
		.amdhsa_exception_fp_ieee_div_zero 0
		.amdhsa_exception_fp_ieee_overflow 0
		.amdhsa_exception_fp_ieee_underflow 0
		.amdhsa_exception_fp_ieee_inexact 0
		.amdhsa_exception_int_div_zero 0
	.end_amdhsa_kernel
	.text
.Lfunc_end12:
	.size	naive_conv_ab_packed_fwd_nhwc_float_double_float, .Lfunc_end12-naive_conv_ab_packed_fwd_nhwc_float_double_float
                                        ; -- End function
	.set naive_conv_ab_packed_fwd_nhwc_float_double_float.num_vgpr, 26
	.set naive_conv_ab_packed_fwd_nhwc_float_double_float.num_agpr, 0
	.set naive_conv_ab_packed_fwd_nhwc_float_double_float.numbered_sgpr, 60
	.set naive_conv_ab_packed_fwd_nhwc_float_double_float.num_named_barrier, 0
	.set naive_conv_ab_packed_fwd_nhwc_float_double_float.private_seg_size, 0
	.set naive_conv_ab_packed_fwd_nhwc_float_double_float.uses_vcc, 1
	.set naive_conv_ab_packed_fwd_nhwc_float_double_float.uses_flat_scratch, 0
	.set naive_conv_ab_packed_fwd_nhwc_float_double_float.has_dyn_sized_stack, 0
	.set naive_conv_ab_packed_fwd_nhwc_float_double_float.has_recursion, 0
	.set naive_conv_ab_packed_fwd_nhwc_float_double_float.has_indirect_call, 0
	.section	.AMDGPU.csdata,"",@progbits
; Kernel info:
; codeLenInByte = 1504
; TotalNumSgprs: 62
; NumVgprs: 26
; ScratchSize: 0
; MemoryBound: 0
; FloatMode: 240
; IeeeMode: 1
; LDSByteSize: 0 bytes/workgroup (compile time only)
; SGPRBlocks: 0
; VGPRBlocks: 1
; NumSGPRsForWavesPerEU: 62
; NumVGPRsForWavesPerEU: 26
; NamedBarCnt: 0
; Occupancy: 16
; WaveLimiterHint : 0
; COMPUTE_PGM_RSRC2:SCRATCH_EN: 0
; COMPUTE_PGM_RSRC2:USER_SGPR: 2
; COMPUTE_PGM_RSRC2:TRAP_HANDLER: 0
; COMPUTE_PGM_RSRC2:TGID_X_EN: 1
; COMPUTE_PGM_RSRC2:TGID_Y_EN: 0
; COMPUTE_PGM_RSRC2:TGID_Z_EN: 0
; COMPUTE_PGM_RSRC2:TIDIG_COMP_CNT: 0
	.text
	.protected	naive_conv_ab_nonpacked_fwd_nhwc_float_double_float ; -- Begin function naive_conv_ab_nonpacked_fwd_nhwc_float_double_float
	.globl	naive_conv_ab_nonpacked_fwd_nhwc_float_double_float
	.p2align	8
	.type	naive_conv_ab_nonpacked_fwd_nhwc_float_double_float,@function
naive_conv_ab_nonpacked_fwd_nhwc_float_double_float: ; @naive_conv_ab_nonpacked_fwd_nhwc_float_double_float
; %bb.0:
	s_load_b512 s[4:19], s[0:1], 0xa0
	s_bfe_u32 s2, ttmp6, 0x4000c
	s_and_b32 s3, ttmp6, 15
	s_add_co_i32 s2, s2, 1
	s_getreg_b32 s20, hwreg(HW_REG_IB_STS2, 6, 4)
	s_mul_i32 s2, ttmp9, s2
	s_delay_alu instid0(SALU_CYCLE_1) | instskip(SKIP_2) | instid1(SALU_CYCLE_1)
	s_add_co_i32 s3, s3, s2
	s_cmp_eq_u32 s20, 0
	s_cselect_b32 s33, ttmp9, s3
	s_abs_i32 s21, s33
	s_wait_kmcnt 0x0
	s_abs_i32 s2, s9
	s_delay_alu instid0(SALU_CYCLE_1) | instskip(SKIP_1) | instid1(SALU_CYCLE_2)
	s_cvt_f32_u32 s3, s2
	s_sub_co_i32 s20, 0, s2
	v_rcp_iflag_f32_e32 v1, s3
	v_nop
	s_delay_alu instid0(TRANS32_DEP_1) | instskip(SKIP_1) | instid1(SALU_CYCLE_3)
	v_readfirstlane_b32 s3, v1
	s_mul_f32 s3, s3, 0x4f7ffffe
	s_cvt_u32_f32 s3, s3
	s_delay_alu instid0(SALU_CYCLE_3) | instskip(NEXT) | instid1(SALU_CYCLE_1)
	s_mul_i32 s20, s20, s3
	s_mul_hi_u32 s20, s3, s20
	s_delay_alu instid0(SALU_CYCLE_1) | instskip(NEXT) | instid1(SALU_CYCLE_1)
	s_add_co_i32 s3, s3, s20
	s_mul_hi_u32 s3, s21, s3
	s_delay_alu instid0(SALU_CYCLE_1) | instskip(NEXT) | instid1(SALU_CYCLE_1)
	s_mul_i32 s20, s3, s2
	s_sub_co_i32 s20, s21, s20
	s_add_co_i32 s21, s3, 1
	s_sub_co_i32 s22, s20, s2
	s_cmp_ge_u32 s20, s2
	s_cselect_b32 s3, s21, s3
	s_cselect_b32 s20, s22, s20
	s_add_co_i32 s21, s3, 1
	s_cmp_ge_u32 s20, s2
	s_mov_b32 s20, exec_lo
	s_cselect_b32 s2, s21, s3
	s_abs_i32 s34, s6
	s_mul_i32 s6, s19, s7
	s_cvt_f32_u32 s3, s34
	s_mul_i32 s19, s6, s10
	s_delay_alu instid0(SALU_CYCLE_2) | instskip(SKIP_2) | instid1(TRANS32_DEP_1)
	v_rcp_iflag_f32_e32 v1, s3
	s_mov_b32 s3, 0
	v_nop
	v_readfirstlane_b32 s10, v1
	v_cmpx_gt_i32_e64 s19, v0
	s_cbranch_execz .LBB13_18
; %bb.1:
	s_mul_f32 s10, s10, 0x4f7ffffe
	s_xor_b32 s28, s33, s9
	s_sub_co_i32 s30, 0, s34
	s_ashr_i32 s28, s28, 31
	s_cvt_u32_f32 s10, s10
	s_xor_b32 s2, s2, s28
	s_mov_b32 s29, s3
	s_sub_co_i32 s35, s2, s28
	s_mul_i32 s30, s30, s10
	s_abs_i32 s2, s35
	s_mul_hi_u32 s28, s10, s30
	s_ashr_i32 s40, s35, 31
	s_add_co_i32 s28, s10, s28
	s_mul_i32 s35, s35, s9
	s_mul_u64 s[36:37], s[2:3], s[28:29]
	s_clause 0x1
	s_load_b64 s[38:39], s[0:1], 0x98
	s_load_b128 s[28:31], s[0:1], 0x88
	s_mul_i32 s10, s37, s34
	s_load_b256 s[20:27], s[0:1], 0x0
	s_sub_co_i32 s2, s2, s10
	s_sub_co_i32 s10, s33, s35
	;; [unrolled: 1-line block ×3, first 2 shown]
	s_cmp_ge_u32 s2, s34
	s_mul_i32 s33, s10, s11
	s_cselect_b32 s2, s9, s2
	s_load_b256 s[52:59], s[0:1], 0x68
	s_sub_co_i32 s9, s2, s34
	s_cmp_ge_u32 s2, s34
	s_load_b64 s[34:35], s[0:1], 0x20
	s_cselect_b32 s2, s9, s2
	s_ashr_i32 s11, s10, 31
	s_xor_b32 s2, s2, s40
	s_load_b32 s63, s[0:1], 0xec
	s_sub_co_i32 s66, s2, s40
	v_mov_b32_e32 v3, 0
	s_ashr_i32 s67, s66, 31
	s_wait_kmcnt 0x0
	s_mul_u64 s[10:11], s[30:31], s[10:11]
	s_mul_u64 s[30:31], s[38:39], s[66:67]
	s_lshl_b64 s[64:65], s[10:11], 2
	s_lshl_b64 s[10:11], s[30:31], 2
	s_cmp_lt_i32 s17, 1
	v_cmp_neq_f64_e64 s68, s[24:25], 1.0
	s_cselect_b32 s9, -1, 0
	s_sub_co_i32 s15, s33, s15
	v_cmp_neq_f64_e64 s2, s[26:27], 0
	s_cmp_gt_i32 s18, 0
	s_load_b512 s[36:51], s[0:1], 0x28
	s_cselect_b32 s33, -1, 0
	s_cmp_gt_i32 s8, 0
	s_wait_xcnt 0x0
	s_add_nc_u64 s[0:1], s[34:35], s[10:11]
	s_cselect_b32 s60, -1, 0
	s_abs_i32 s61, s6
	s_abs_i32 s62, s7
	s_cvt_f32_u32 s30, s61
	s_cvt_f32_u32 s31, s62
	s_lshl_b64 s[34:35], s[52:53], 2
	s_sub_co_i32 s52, 0, s61
	v_rcp_iflag_f32_e32 v1, s30
	v_rcp_iflag_f32_e32 v2, s31
	s_add_nc_u64 s[30:31], s[0:1], s[64:65]
	s_sub_co_i32 s53, 0, s62
	s_mov_b32 s11, s3
	s_and_b32 s1, s63, 0xffff
	s_ashr_i32 s63, s6, 31
	v_readfirstlane_b32 s0, v1
	v_readfirstlane_b32 s10, v2
	s_ashr_i32 s64, s7, 31
	s_wait_kmcnt 0x0
	s_lshl_b64 s[50:51], s[50:51], 2
	s_lshl_b64 s[46:47], s[46:47], 2
	s_mul_f32 s0, s0, 0x4f7ffffe
	s_mul_f32 s10, s10, 0x4f7ffffe
	s_lshl_b64 s[38:39], s[38:39], 2
	s_lshl_b64 s[42:43], s[42:43], 2
	s_cvt_u32_f32 s0, s0
	s_cvt_u32_f32 s10, s10
	s_lshl_b64 s[40:41], s[40:41], 2
	s_or_b32 s65, s68, s2
	s_mul_i32 s52, s52, s0
	s_mul_i32 s53, s53, s10
	s_mul_hi_u32 s2, s0, s52
	s_mul_hi_u32 s52, s10, s53
	s_add_co_i32 s2, s0, s2
	s_add_co_i32 s10, s10, s52
	s_lshl_b64 s[52:53], s[54:55], 2
	s_mul_u64 s[54:55], s[44:45], s[66:67]
	s_lshl_b64 s[44:45], s[48:49], 2
	s_lshl_b64 s[48:49], s[54:55], 2
	;; [unrolled: 1-line block ×3, first 2 shown]
	s_add_nc_u64 s[20:21], s[20:21], s[48:49]
	s_mov_b32 s48, s3
	s_branch .LBB13_3
.LBB13_2:                               ;   in Loop: Header=BB13_3 Depth=1
	s_delay_alu instid0(VALU_DEP_1) | instskip(SKIP_1) | instid1(VALU_DEP_1)
	v_cvt_f32_f64_e32 v1, v[10:11]
	v_add_nc_u32_e32 v0, s1, v0
	v_cmp_le_i32_e32 vcc_lo, s19, v0
	s_or_b32 s48, vcc_lo, s48
	global_store_b32 v[4:5], v1, off
	s_wait_xcnt 0x0
	s_and_not1_b32 exec_lo, exec_lo, s48
	s_cbranch_execz .LBB13_18
.LBB13_3:                               ; =>This Loop Header: Depth=1
                                        ;     Child Loop BB13_8 Depth 2
                                        ;       Child Loop BB13_11 Depth 3
                                        ;         Child Loop BB13_14 Depth 4
	v_sub_nc_u32_e32 v1, 0, v0
	s_mov_b32 s0, -1
	s_delay_alu instid0(VALU_DEP_1) | instskip(NEXT) | instid1(VALU_DEP_1)
	v_max_i32_e32 v2, v0, v1
	v_mul_u64_e32 v[4:5], s[2:3], v[2:3]
	s_delay_alu instid0(VALU_DEP_1) | instskip(NEXT) | instid1(VALU_DEP_1)
	v_mul_lo_u32 v1, v5, s61
	v_sub_nc_u32_e32 v1, v2, v1
	v_add_nc_u32_e32 v2, 1, v5
	s_delay_alu instid0(VALU_DEP_2) | instskip(NEXT) | instid1(VALU_DEP_2)
	v_cmp_le_u32_e32 vcc_lo, s61, v1
	v_cndmask_b32_e32 v2, v5, v2, vcc_lo
	v_subrev_nc_u32_e32 v4, s61, v1
	v_ashrrev_i32_e32 v5, 31, v0
	s_delay_alu instid0(VALU_DEP_2) | instskip(NEXT) | instid1(VALU_DEP_1)
	v_dual_cndmask_b32 v1, v1, v4 :: v_dual_add_nc_u32 v4, 1, v2
	v_cmp_le_u32_e32 vcc_lo, s61, v1
	s_delay_alu instid0(VALU_DEP_2) | instskip(NEXT) | instid1(VALU_DEP_1)
	v_dual_cndmask_b32 v1, v2, v4, vcc_lo :: v_dual_bitop2_b32 v5, s63, v5 bitop3:0x14
	v_xor_b32_e32 v1, v1, v5
	s_delay_alu instid0(VALU_DEP_1) | instskip(NEXT) | instid1(VALU_DEP_1)
	v_sub_nc_u32_e32 v4, v1, v5
	v_mul_lo_u32 v1, v4, s6
	s_delay_alu instid0(VALU_DEP_1) | instskip(NEXT) | instid1(VALU_DEP_1)
	v_sub_nc_u32_e32 v12, v0, v1
	v_sub_nc_u32_e32 v1, 0, v12
	s_delay_alu instid0(VALU_DEP_1) | instskip(NEXT) | instid1(VALU_DEP_1)
	v_max_i32_e32 v2, v12, v1
	v_mul_u64_e32 v[6:7], s[10:11], v[2:3]
	s_delay_alu instid0(VALU_DEP_1) | instskip(NEXT) | instid1(VALU_DEP_1)
	v_mul_lo_u32 v1, v7, s62
	v_dual_sub_nc_u32 v1, v2, v1 :: v_dual_add_nc_u32 v2, 1, v7
	v_ashrrev_i32_e32 v13, 31, v12
	s_delay_alu instid0(VALU_DEP_2) | instskip(SKIP_1) | instid1(VALU_DEP_3)
	v_subrev_nc_u32_e32 v5, s62, v1
	v_cmp_le_u32_e32 vcc_lo, s62, v1
	v_dual_cndmask_b32 v2, v7, v2, vcc_lo :: v_dual_bitop2_b32 v6, s64, v13 bitop3:0x14
	s_delay_alu instid0(VALU_DEP_1) | instskip(NEXT) | instid1(VALU_DEP_1)
	v_dual_cndmask_b32 v1, v1, v5, vcc_lo :: v_dual_add_nc_u32 v5, 1, v2
	v_cmp_le_u32_e32 vcc_lo, s62, v1
	s_delay_alu instid0(VALU_DEP_2) | instskip(SKIP_1) | instid1(VALU_DEP_1)
	v_cndmask_b32_e32 v1, v2, v5, vcc_lo
	s_and_not1_b32 vcc_lo, exec_lo, s9
	v_xor_b32_e32 v1, v1, v6
	s_delay_alu instid0(VALU_DEP_1) | instskip(NEXT) | instid1(VALU_DEP_1)
	v_sub_nc_u32_e32 v6, v1, v6
	v_mul_lo_u32 v14, v6, s7
	s_delay_alu instid0(VALU_DEP_1) | instskip(NEXT) | instid1(VALU_DEP_1)
	v_sub_nc_u32_e32 v8, v12, v14
	v_dual_ashrrev_i32 v9, 31, v8 :: v_dual_ashrrev_i32 v7, 31, v6
	s_cbranch_vccnz .LBB13_5
; %bb.4:                                ;   in Loop: Header=BB13_3 Depth=1
	s_mov_b32 s0, 0
.LBB13_5:                               ;   in Loop: Header=BB13_3 Depth=1
	v_mov_b64_e32 v[10:11], 0
	s_and_not1_b32 vcc_lo, exec_lo, s0
	s_cbranch_vccnz .LBB13_16
; %bb.6:                                ;   in Loop: Header=BB13_3 Depth=1
	v_mul_u64_e32 v[10:11], s[52:53], v[6:7]
	v_ashrrev_i32_e32 v15, 31, v14
	s_mov_b32 s49, 0
	s_mov_b32 s54, s15
	s_delay_alu instid0(VALU_DEP_1) | instskip(SKIP_1) | instid1(VALU_DEP_1)
	v_sub_nc_u64_e32 v[14:15], v[12:13], v[14:15]
	v_mad_nc_u64_u32 v[12:13], s38, v6, s[20:21]
	v_mad_u32 v2, s39, v6, v13
	s_delay_alu instid0(VALU_DEP_1) | instskip(NEXT) | instid1(VALU_DEP_4)
	v_mad_u32 v13, s38, v7, v2
	v_mad_nc_u64_u32 v[10:11], s34, v14, v[10:11]
	s_delay_alu instid0(VALU_DEP_1) | instskip(NEXT) | instid1(VALU_DEP_1)
	v_mad_u32 v1, s35, v14, v11
	v_mad_u32 v11, s34, v15, v1
	v_mul_lo_u32 v1, v4, s12
	s_delay_alu instid0(VALU_DEP_2) | instskip(SKIP_1) | instid1(VALU_DEP_3)
	v_add_nc_u64_e32 v[14:15], s[22:23], v[10:11]
	v_mov_b64_e32 v[10:11], 0
	v_subrev_nc_u32_e32 v1, s16, v1
	s_branch .LBB13_8
.LBB13_7:                               ;   in Loop: Header=BB13_8 Depth=2
	s_delay_alu instid0(VALU_DEP_1)
	v_add_nc_u64_e32 v[14:15], s[50:51], v[14:15]
	s_add_co_i32 s49, s49, 1
	s_add_co_i32 s54, s54, s13
	s_cmp_eq_u32 s49, s17
	s_cbranch_scc1 .LBB13_16
.LBB13_8:                               ;   Parent Loop BB13_3 Depth=1
                                        ; =>  This Loop Header: Depth=2
                                        ;       Child Loop BB13_11 Depth 3
                                        ;         Child Loop BB13_14 Depth 4
	s_and_not1_b32 vcc_lo, exec_lo, s33
	s_cbranch_vccnz .LBB13_7
; %bb.9:                                ;   in Loop: Header=BB13_8 Depth=2
	v_mad_nc_u64_u32 v[16:17], s42, s54, v[12:13]
	s_mul_i32 s0, s49, s13
	v_mov_b64_e32 v[18:19], v[14:15]
	s_add_co_i32 s0, s0, s15
	v_mov_b32_e32 v2, v1
	s_cmp_lt_i32 s0, 0
	s_mov_b32 s55, 0
	s_cselect_b32 s66, -1, 0
	s_cmp_ge_i32 s0, s4
	s_cselect_b32 s0, -1, 0
	s_delay_alu instid0(VALU_DEP_3)
	v_mad_u32 v17, s43, s54, v17
	s_or_b32 s66, s66, s0
	s_branch .LBB13_11
.LBB13_10:                              ;   in Loop: Header=BB13_11 Depth=3
	v_add_nc_u64_e32 v[18:19], s[44:45], v[18:19]
	v_add_nc_u32_e32 v2, s14, v2
	s_add_co_i32 s55, s55, 1
	s_delay_alu instid0(SALU_CYCLE_1)
	s_cmp_eq_u32 s55, s18
	s_cbranch_scc1 .LBB13_7
.LBB13_11:                              ;   Parent Loop BB13_3 Depth=1
                                        ;     Parent Loop BB13_8 Depth=2
                                        ; =>    This Loop Header: Depth=3
                                        ;         Child Loop BB13_14 Depth 4
	s_and_not1_b32 vcc_lo, exec_lo, s60
	s_cbranch_vccnz .LBB13_10
; %bb.12:                               ;   in Loop: Header=BB13_11 Depth=3
	s_delay_alu instid0(VALU_DEP_1) | instskip(SKIP_3) | instid1(VALU_DEP_3)
	v_mad_nc_u64_u32 v[20:21], s40, v2, v[16:17]
	v_mad_u32 v5, s55, s14, v1
	v_mov_b64_e32 v[22:23], v[18:19]
	s_mov_b32 s67, s8
	v_mad_u32 v21, s41, v2, v21
	s_delay_alu instid0(VALU_DEP_3) | instskip(SKIP_2) | instid1(SALU_CYCLE_1)
	v_cmp_gt_i32_e32 vcc_lo, 0, v5
	v_cmp_le_i32_e64 s0, s5, v5
	s_or_b32 s0, vcc_lo, s0
	s_nor_b32 s0, s66, s0
	s_branch .LBB13_14
.LBB13_13:                              ;   in Loop: Header=BB13_14 Depth=4
	s_wait_xcnt 0x0
	s_or_b32 exec_lo, exec_lo, s68
	v_add_nc_u64_e32 v[22:23], s[46:47], v[22:23]
	v_add_nc_u64_e32 v[20:21], s[36:37], v[20:21]
	s_add_co_i32 s67, s67, -1
	s_delay_alu instid0(SALU_CYCLE_1)
	s_cmp_eq_u32 s67, 0
	s_cbranch_scc1 .LBB13_10
.LBB13_14:                              ;   Parent Loop BB13_3 Depth=1
                                        ;     Parent Loop BB13_8 Depth=2
                                        ;       Parent Loop BB13_11 Depth=3
                                        ; =>      This Inner Loop Header: Depth=4
	s_and_saveexec_b32 s68, s0
	s_cbranch_execz .LBB13_13
; %bb.15:                               ;   in Loop: Header=BB13_14 Depth=4
	global_load_b32 v5, v[20:21], off
	global_load_b32 v26, v[22:23], off
	s_wait_loadcnt 0x1
	v_cvt_f64_f32_e32 v[24:25], v5
	s_wait_loadcnt 0x0
	v_cvt_f64_f32_e32 v[26:27], v26
	s_delay_alu instid0(VALU_DEP_1)
	v_fmac_f64_e32 v[10:11], v[24:25], v[26:27]
	s_branch .LBB13_13
.LBB13_16:                              ;   in Loop: Header=BB13_3 Depth=1
	v_ashrrev_i32_e32 v5, 31, v4
	v_mul_u64_e32 v[6:7], s[58:59], v[6:7]
	v_mul_u64_e32 v[8:9], s[56:57], v[8:9]
	s_and_not1_b32 vcc_lo, exec_lo, s65
	s_delay_alu instid0(VALU_DEP_3) | instskip(NEXT) | instid1(VALU_DEP_1)
	v_mul_u64_e32 v[4:5], s[28:29], v[4:5]
	v_lshl_add_u64 v[4:5], v[4:5], 2, s[30:31]
	s_delay_alu instid0(VALU_DEP_1) | instskip(NEXT) | instid1(VALU_DEP_1)
	v_lshl_add_u64 v[4:5], v[6:7], 2, v[4:5]
	v_lshl_add_u64 v[4:5], v[8:9], 2, v[4:5]
	s_cbranch_vccnz .LBB13_2
; %bb.17:                               ;   in Loop: Header=BB13_3 Depth=1
	global_load_b32 v1, v[4:5], off
	s_wait_loadcnt 0x0
	v_cvt_f64_f32_e32 v[6:7], v1
	s_delay_alu instid0(VALU_DEP_1) | instskip(NEXT) | instid1(VALU_DEP_1)
	v_mul_f64_e32 v[6:7], s[26:27], v[6:7]
	v_fmac_f64_e32 v[6:7], s[24:25], v[10:11]
	s_delay_alu instid0(VALU_DEP_1)
	v_mov_b64_e32 v[10:11], v[6:7]
	s_branch .LBB13_2
.LBB13_18:
	s_endpgm
	.section	.rodata,"a",@progbits
	.p2align	6, 0x0
	.amdhsa_kernel naive_conv_ab_nonpacked_fwd_nhwc_float_double_float
		.amdhsa_group_segment_fixed_size 0
		.amdhsa_private_segment_fixed_size 0
		.amdhsa_kernarg_size 480
		.amdhsa_user_sgpr_count 2
		.amdhsa_user_sgpr_dispatch_ptr 0
		.amdhsa_user_sgpr_queue_ptr 0
		.amdhsa_user_sgpr_kernarg_segment_ptr 1
		.amdhsa_user_sgpr_dispatch_id 0
		.amdhsa_user_sgpr_kernarg_preload_length 0
		.amdhsa_user_sgpr_kernarg_preload_offset 0
		.amdhsa_user_sgpr_private_segment_size 0
		.amdhsa_wavefront_size32 1
		.amdhsa_uses_dynamic_stack 0
		.amdhsa_enable_private_segment 0
		.amdhsa_system_sgpr_workgroup_id_x 1
		.amdhsa_system_sgpr_workgroup_id_y 0
		.amdhsa_system_sgpr_workgroup_id_z 0
		.amdhsa_system_sgpr_workgroup_info 0
		.amdhsa_system_vgpr_workitem_id 0
		.amdhsa_next_free_vgpr 28
		.amdhsa_next_free_sgpr 69
		.amdhsa_named_barrier_count 0
		.amdhsa_reserve_vcc 1
		.amdhsa_float_round_mode_32 0
		.amdhsa_float_round_mode_16_64 0
		.amdhsa_float_denorm_mode_32 3
		.amdhsa_float_denorm_mode_16_64 3
		.amdhsa_fp16_overflow 0
		.amdhsa_memory_ordered 1
		.amdhsa_forward_progress 1
		.amdhsa_inst_pref_size 12
		.amdhsa_round_robin_scheduling 0
		.amdhsa_exception_fp_ieee_invalid_op 0
		.amdhsa_exception_fp_denorm_src 0
		.amdhsa_exception_fp_ieee_div_zero 0
		.amdhsa_exception_fp_ieee_overflow 0
		.amdhsa_exception_fp_ieee_underflow 0
		.amdhsa_exception_fp_ieee_inexact 0
		.amdhsa_exception_int_div_zero 0
	.end_amdhsa_kernel
	.text
.Lfunc_end13:
	.size	naive_conv_ab_nonpacked_fwd_nhwc_float_double_float, .Lfunc_end13-naive_conv_ab_nonpacked_fwd_nhwc_float_double_float
                                        ; -- End function
	.set naive_conv_ab_nonpacked_fwd_nhwc_float_double_float.num_vgpr, 28
	.set naive_conv_ab_nonpacked_fwd_nhwc_float_double_float.num_agpr, 0
	.set naive_conv_ab_nonpacked_fwd_nhwc_float_double_float.numbered_sgpr, 69
	.set naive_conv_ab_nonpacked_fwd_nhwc_float_double_float.num_named_barrier, 0
	.set naive_conv_ab_nonpacked_fwd_nhwc_float_double_float.private_seg_size, 0
	.set naive_conv_ab_nonpacked_fwd_nhwc_float_double_float.uses_vcc, 1
	.set naive_conv_ab_nonpacked_fwd_nhwc_float_double_float.uses_flat_scratch, 0
	.set naive_conv_ab_nonpacked_fwd_nhwc_float_double_float.has_dyn_sized_stack, 0
	.set naive_conv_ab_nonpacked_fwd_nhwc_float_double_float.has_recursion, 0
	.set naive_conv_ab_nonpacked_fwd_nhwc_float_double_float.has_indirect_call, 0
	.section	.AMDGPU.csdata,"",@progbits
; Kernel info:
; codeLenInByte = 1472
; TotalNumSgprs: 71
; NumVgprs: 28
; ScratchSize: 0
; MemoryBound: 0
; FloatMode: 240
; IeeeMode: 1
; LDSByteSize: 0 bytes/workgroup (compile time only)
; SGPRBlocks: 0
; VGPRBlocks: 1
; NumSGPRsForWavesPerEU: 71
; NumVGPRsForWavesPerEU: 28
; NamedBarCnt: 0
; Occupancy: 16
; WaveLimiterHint : 0
; COMPUTE_PGM_RSRC2:SCRATCH_EN: 0
; COMPUTE_PGM_RSRC2:USER_SGPR: 2
; COMPUTE_PGM_RSRC2:TRAP_HANDLER: 0
; COMPUTE_PGM_RSRC2:TGID_X_EN: 1
; COMPUTE_PGM_RSRC2:TGID_Y_EN: 0
; COMPUTE_PGM_RSRC2:TGID_Z_EN: 0
; COMPUTE_PGM_RSRC2:TIDIG_COMP_CNT: 0
	.text
	.protected	naive_conv_ab_packed_fwd_nhwc_half_double_half ; -- Begin function naive_conv_ab_packed_fwd_nhwc_half_double_half
	.globl	naive_conv_ab_packed_fwd_nhwc_half_double_half
	.p2align	8
	.type	naive_conv_ab_packed_fwd_nhwc_half_double_half,@function
naive_conv_ab_packed_fwd_nhwc_half_double_half: ; @naive_conv_ab_packed_fwd_nhwc_half_double_half
; %bb.0:
	s_load_b512 s[4:19], s[0:1], 0xa0
	s_bfe_u32 s2, ttmp6, 0x4000c
	s_and_b32 s3, ttmp6, 15
	s_add_co_i32 s2, s2, 1
	s_getreg_b32 s20, hwreg(HW_REG_IB_STS2, 6, 4)
	s_mul_i32 s2, ttmp9, s2
	s_mov_b32 s29, 0
	s_add_co_i32 s3, s3, s2
	s_cmp_eq_u32 s20, 0
	s_cselect_b32 s30, ttmp9, s3
	s_delay_alu instid0(SALU_CYCLE_1) | instskip(SKIP_2) | instid1(SALU_CYCLE_1)
	s_abs_i32 s21, s30
	s_wait_kmcnt 0x0
	s_abs_i32 s2, s9
	s_cvt_f32_u32 s3, s2
	s_sub_co_i32 s20, 0, s2
	s_delay_alu instid0(SALU_CYCLE_2) | instskip(SKIP_1) | instid1(TRANS32_DEP_1)
	v_rcp_iflag_f32_e32 v1, s3
	v_nop
	v_readfirstlane_b32 s3, v1
	s_mul_f32 s3, s3, 0x4f7ffffe
	s_delay_alu instid0(SALU_CYCLE_3) | instskip(NEXT) | instid1(SALU_CYCLE_3)
	s_cvt_u32_f32 s3, s3
	s_mul_i32 s20, s20, s3
	s_delay_alu instid0(SALU_CYCLE_1) | instskip(NEXT) | instid1(SALU_CYCLE_1)
	s_mul_hi_u32 s20, s3, s20
	s_add_co_i32 s3, s3, s20
	s_delay_alu instid0(SALU_CYCLE_1) | instskip(NEXT) | instid1(SALU_CYCLE_1)
	s_mul_hi_u32 s3, s21, s3
	s_mul_i32 s20, s3, s2
	s_delay_alu instid0(SALU_CYCLE_1)
	s_sub_co_i32 s20, s21, s20
	s_add_co_i32 s21, s3, 1
	s_sub_co_i32 s22, s20, s2
	s_cmp_ge_u32 s20, s2
	s_cselect_b32 s3, s21, s3
	s_cselect_b32 s20, s22, s20
	s_add_co_i32 s21, s3, 1
	s_cmp_ge_u32 s20, s2
	s_cselect_b32 s28, s21, s3
	s_abs_i32 s3, s6
	s_mov_b32 s21, exec_lo
	s_cvt_f32_u32 s2, s3
	s_delay_alu instid0(SALU_CYCLE_3) | instskip(SKIP_1) | instid1(SALU_CYCLE_1)
	v_rcp_iflag_f32_e32 v1, s2
	s_mul_i32 s2, s19, s7
	s_mul_i32 s6, s2, s10
	v_nop
	s_delay_alu instid0(TRANS32_DEP_1)
	v_readfirstlane_b32 s20, v1
	v_cmpx_gt_i32_e64 s6, v0
	s_cbranch_execz .LBB14_20
; %bb.1:
	s_mul_f32 s31, s20, 0x4f7ffffe
	s_xor_b32 s33, s30, s9
	s_sub_co_i32 s34, 0, s3
	s_ashr_i32 s33, s33, 31
	s_cvt_u32_f32 s31, s31
	s_xor_b32 s28, s28, s33
	s_mov_b32 s35, s29
	s_sub_co_i32 s33, s28, s33
	s_mul_i32 s34, s34, s31
	s_abs_i32 s28, s33
	s_mul_hi_u32 s34, s31, s34
	s_load_b256 s[20:27], s[0:1], 0x0
	s_add_co_i32 s34, s31, s34
	s_mov_b32 s40, s9
	s_mul_u64 s[34:35], s[28:29], s[34:35]
	s_ashr_i32 s34, s33, 31
	s_mul_i32 s31, s35, s3
	s_mul_i32 s33, s33, s9
	s_sub_co_i32 s28, s28, s31
	s_sub_co_i32 s38, s30, s33
	s_sub_co_i32 s30, s28, s3
	s_cmp_ge_u32 s28, s3
	s_mul_i32 s33, s19, s8
	s_cselect_b32 s19, s30, s28
	s_mov_b32 s42, s10
	s_sub_co_i32 s28, s19, s3
	s_cmp_ge_u32 s19, s3
	s_load_b64 s[36:37], s[0:1], 0x20
	s_cselect_b32 s3, s28, s19
	s_ashr_i32 s41, s9, 31
	s_xor_b32 s3, s3, s34
	s_ashr_i32 s43, s10, 31
	s_sub_co_i32 s44, s3, s34
	s_ashr_i32 s39, s38, 31
	s_ashr_i32 s45, s44, 31
	;; [unrolled: 1-line block ×3, first 2 shown]
	s_mul_u64 s[40:41], s[44:45], s[40:41]
	s_mul_u64 s[42:43], s[2:3], s[42:43]
	s_add_nc_u64 s[40:41], s[40:41], s[38:39]
	s_wait_kmcnt 0x0
	v_cmp_neq_f64_e64 s28, s[24:25], 1.0
	v_cmp_neq_f64_e64 s39, s[26:27], 0
	s_mul_u64 s[40:41], s[42:43], s[40:41]
	s_ashr_i32 s31, s4, 31
	s_ashr_i32 s35, s5, 31
	s_ashr_i32 s50, s33, 31
	s_lshl_b64 s[40:41], s[40:41], 1
	s_cmp_lt_i32 s17, 1
	s_mul_i32 s9, s38, s11
	s_cselect_b32 s51, -1, 0
	s_sub_co_i32 s15, s9, s15
	s_cmp_gt_i32 s18, 0
	s_load_b32 s0, s[0:1], 0xec
	s_cselect_b32 s52, -1, 0
	s_cmp_gt_i32 s8, 0
	s_mov_b32 s30, s4
	s_cselect_b32 s53, -1, 0
	s_abs_i32 s54, s2
	s_wait_xcnt 0x0
	s_abs_i32 s1, s7
	s_cvt_f32_u32 s9, s54
	s_cvt_f32_u32 s10, s1
	s_mov_b32 s34, s5
	s_add_nc_u64 s[4:5], s[36:37], s[40:41]
	v_rcp_iflag_f32_e32 v1, s9
	v_rcp_iflag_f32_e32 v2, s10
	s_ashr_i32 s9, s8, 31
	s_ashr_i32 s47, s17, 31
	s_mov_b32 s46, s17
	s_mul_u64 s[42:43], s[34:35], s[30:31]
	v_mov_b32_e32 v3, 0
	v_readfirstlane_b32 s19, v1
	v_readfirstlane_b32 s36, v2
	s_wait_kmcnt 0x0
	s_and_b32 s56, s0, 0xffff
	s_or_b32 s55, s28, s39
	s_sub_co_i32 s0, 0, s54
	s_mul_f32 s37, s19, 0x4f7ffffe
	s_mul_f32 s28, s36, 0x4f7ffffe
	s_ashr_i32 s19, s18, 31
	v_mov_b32_e32 v1, 0x7e00
	s_cvt_u32_f32 s36, s37
	s_cvt_u32_f32 s28, s28
	s_sub_co_i32 s37, 0, s1
	s_mul_u64 s[48:49], s[18:19], s[8:9]
	s_mul_i32 s0, s0, s36
	s_mul_i32 s37, s37, s28
	s_mul_hi_u32 s0, s36, s0
	s_mul_u64 s[42:43], s[42:43], s[44:45]
	s_add_co_i32 s36, s36, s0
	s_mul_hi_u32 s0, s28, s37
	s_mul_u64 s[44:45], s[48:49], s[46:47]
	s_ashr_i32 s11, s7, 31
	s_mov_b32 s10, s7
	s_mov_b32 s37, s29
	s_add_co_i32 s38, s28, s0
	s_mov_b32 s39, s29
	s_lshl_b64 s[40:41], s[8:9], 1
	s_lshl_b64 s[42:43], s[42:43], 1
	;; [unrolled: 1-line block ×4, first 2 shown]
	s_mov_b32 s9, 0
	s_branch .LBB14_3
.LBB14_2:                               ;   in Loop: Header=BB14_3 Depth=1
	v_add_nc_u32_e32 v0, s56, v0
	s_delay_alu instid0(VALU_DEP_1)
	v_cmp_le_i32_e32 vcc_lo, s6, v0
	s_or_b32 s9, vcc_lo, s9
	s_wait_xcnt 0x0
	s_and_not1_b32 exec_lo, exec_lo, s9
	s_cbranch_execz .LBB14_20
.LBB14_3:                               ; =>This Loop Header: Depth=1
                                        ;     Child Loop BB14_8 Depth 2
                                        ;       Child Loop BB14_11 Depth 3
                                        ;         Child Loop BB14_14 Depth 4
	v_sub_nc_u32_e32 v2, 0, v0
	s_mov_b32 s0, -1
                                        ; implicit-def: $vgpr8_vgpr9
	s_delay_alu instid0(VALU_DEP_1) | instskip(NEXT) | instid1(VALU_DEP_1)
	v_max_i32_e32 v2, v0, v2
	v_mul_u64_e32 v[4:5], s[36:37], v[2:3]
	s_delay_alu instid0(VALU_DEP_1) | instskip(NEXT) | instid1(VALU_DEP_1)
	v_mul_lo_u32 v4, v5, s54
	v_dual_sub_nc_u32 v2, v2, v4 :: v_dual_add_nc_u32 v4, 1, v5
	s_delay_alu instid0(VALU_DEP_1) | instskip(SKIP_1) | instid1(VALU_DEP_3)
	v_subrev_nc_u32_e32 v6, s54, v2
	v_cmp_le_u32_e32 vcc_lo, s54, v2
	v_cndmask_b32_e32 v4, v5, v4, vcc_lo
	s_delay_alu instid0(VALU_DEP_3) | instskip(NEXT) | instid1(VALU_DEP_2)
	v_dual_cndmask_b32 v2, v2, v6 :: v_dual_ashrrev_i32 v5, 31, v0
	v_add_nc_u32_e32 v6, 1, v4
	s_delay_alu instid0(VALU_DEP_2) | instskip(NEXT) | instid1(VALU_DEP_2)
	v_cmp_le_u32_e32 vcc_lo, s54, v2
	v_dual_cndmask_b32 v2, v4, v6, vcc_lo :: v_dual_bitop2_b32 v5, s3, v5 bitop3:0x14
	s_delay_alu instid0(VALU_DEP_1) | instskip(NEXT) | instid1(VALU_DEP_1)
	v_xor_b32_e32 v2, v2, v5
	v_sub_nc_u32_e32 v20, v2, v5
	s_delay_alu instid0(VALU_DEP_1) | instskip(NEXT) | instid1(VALU_DEP_1)
	v_mul_lo_u32 v2, v20, s2
	v_sub_nc_u32_e32 v10, v0, v2
	s_delay_alu instid0(VALU_DEP_1) | instskip(NEXT) | instid1(VALU_DEP_1)
	v_dual_sub_nc_u32 v2, 0, v10 :: v_dual_ashrrev_i32 v11, 31, v10
	v_max_i32_e32 v2, v10, v2
	s_delay_alu instid0(VALU_DEP_1) | instskip(NEXT) | instid1(VALU_DEP_1)
	v_mul_u64_e32 v[4:5], s[38:39], v[2:3]
	v_mul_lo_u32 v4, v5, s1
	s_delay_alu instid0(VALU_DEP_1) | instskip(NEXT) | instid1(VALU_DEP_1)
	v_dual_sub_nc_u32 v2, v2, v4 :: v_dual_add_nc_u32 v4, 1, v5
	v_subrev_nc_u32_e32 v6, s1, v2
	v_cmp_le_u32_e32 vcc_lo, s1, v2
	s_delay_alu instid0(VALU_DEP_2) | instskip(NEXT) | instid1(VALU_DEP_1)
	v_dual_cndmask_b32 v4, v5, v4, vcc_lo :: v_dual_cndmask_b32 v2, v2, v6, vcc_lo
	v_dual_add_nc_u32 v5, 1, v4 :: v_dual_bitop2_b32 v6, s11, v11 bitop3:0x14
	s_delay_alu instid0(VALU_DEP_2) | instskip(NEXT) | instid1(VALU_DEP_2)
	v_cmp_le_u32_e32 vcc_lo, s1, v2
	v_cndmask_b32_e32 v2, v4, v5, vcc_lo
	s_and_not1_b32 vcc_lo, exec_lo, s51
	s_delay_alu instid0(VALU_DEP_1) | instskip(NEXT) | instid1(VALU_DEP_1)
	v_xor_b32_e32 v2, v2, v6
	v_sub_nc_u32_e32 v14, v2, v6
	s_delay_alu instid0(VALU_DEP_1) | instskip(NEXT) | instid1(VALU_DEP_1)
	v_mul_lo_u32 v12, v14, s7
	v_dual_ashrrev_i32 v15, 31, v14 :: v_dual_sub_nc_u32 v6, v10, v12
	s_delay_alu instid0(VALU_DEP_1)
	v_ashrrev_i32_e32 v7, 31, v6
	s_cbranch_vccnz .LBB14_5
; %bb.4:                                ;   in Loop: Header=BB14_3 Depth=1
	s_delay_alu instid0(VALU_DEP_2)
	v_mul_u64_e32 v[8:9], s[10:11], v[14:15]
	s_mov_b32 s0, 0
.LBB14_5:                               ;   in Loop: Header=BB14_3 Depth=1
	v_mov_b64_e32 v[4:5], 0
	s_and_not1_b32 vcc_lo, exec_lo, s0
	s_cbranch_vccnz .LBB14_16
; %bb.6:                                ;   in Loop: Header=BB14_3 Depth=1
	v_mul_u64_e32 v[8:9], s[10:11], v[14:15]
	v_ashrrev_i32_e32 v13, 31, v12
	s_mov_b32 s19, 0
	s_mov_b32 s28, s15
	s_delay_alu instid0(VALU_DEP_2) | instskip(SKIP_1) | instid1(VALU_DEP_2)
	v_add_nc_u64_e32 v[4:5], v[8:9], v[10:11]
	v_mad_nc_u64_u32 v[10:11], s40, v14, s[20:21]
	v_sub_nc_u64_e32 v[4:5], v[4:5], v[12:13]
	s_delay_alu instid0(VALU_DEP_2) | instskip(SKIP_1) | instid1(VALU_DEP_3)
	v_mad_u32 v2, s41, v14, v11
	v_mul_lo_u32 v14, v20, s12
	v_mad_nc_u64_u32 v[12:13], s44, v4, s[22:23]
	s_delay_alu instid0(VALU_DEP_3) | instskip(NEXT) | instid1(VALU_DEP_3)
	v_mad_u32 v11, s40, v15, v2
	v_subrev_nc_u32_e32 v21, s16, v14
	s_delay_alu instid0(VALU_DEP_3) | instskip(NEXT) | instid1(VALU_DEP_1)
	v_mad_u32 v4, s45, v4, v13
	v_mad_u32 v13, s44, v5, v4
	v_mov_b64_e32 v[4:5], 0
	s_branch .LBB14_8
.LBB14_7:                               ;   in Loop: Header=BB14_8 Depth=2
	s_delay_alu instid0(VALU_DEP_1)
	v_add_nc_u64_e32 v[12:13], s[46:47], v[12:13]
	s_add_co_i32 s19, s19, 1
	s_add_co_i32 s28, s28, s13
	s_cmp_eq_u32 s19, s17
	s_cbranch_scc1 .LBB14_16
.LBB14_8:                               ;   Parent Loop BB14_3 Depth=1
                                        ; =>  This Loop Header: Depth=2
                                        ;       Child Loop BB14_11 Depth 3
                                        ;         Child Loop BB14_14 Depth 4
	s_and_not1_b32 vcc_lo, exec_lo, s52
	s_cbranch_vccnz .LBB14_7
; %bb.9:                                ;   in Loop: Header=BB14_8 Depth=2
	s_mul_i32 s0, s19, s13
	s_delay_alu instid0(VALU_DEP_1)
	v_mov_b64_e32 v[14:15], v[12:13]
	s_add_co_i32 s0, s0, s15
	v_mov_b32_e32 v2, v21
	s_cmp_lt_i32 s0, 0
	s_mul_u64 s[48:49], s[34:35], s[28:29]
	s_cselect_b32 s57, -1, 0
	s_cmp_ge_i32 s0, s30
	s_mov_b32 s31, 0
	s_cselect_b32 s0, -1, 0
	s_delay_alu instid0(SALU_CYCLE_1)
	s_or_b32 s57, s57, s0
	s_branch .LBB14_11
.LBB14_10:                              ;   in Loop: Header=BB14_11 Depth=3
	v_add_nc_u64_e32 v[14:15], s[40:41], v[14:15]
	v_add_nc_u32_e32 v2, s14, v2
	s_add_co_i32 s31, s31, 1
	s_delay_alu instid0(SALU_CYCLE_1)
	s_cmp_eq_u32 s31, s18
	s_cbranch_scc1 .LBB14_7
.LBB14_11:                              ;   Parent Loop BB14_3 Depth=1
                                        ;     Parent Loop BB14_8 Depth=2
                                        ; =>    This Loop Header: Depth=3
                                        ;         Child Loop BB14_14 Depth 4
	s_and_not1_b32 vcc_lo, exec_lo, s53
	s_cbranch_vccnz .LBB14_10
; %bb.12:                               ;   in Loop: Header=BB14_11 Depth=3
	v_add_nc_u64_e32 v[16:17], s[48:49], v[2:3]
	v_mad_u32 v22, s31, s14, v21
	s_mov_b32 s58, s8
	s_delay_alu instid0(VALU_DEP_2) | instskip(NEXT) | instid1(VALU_DEP_2)
	v_lshl_add_u64 v[18:19], v[16:17], 1, s[42:43]
	v_cmp_gt_i32_e32 vcc_lo, 0, v22
	s_delay_alu instid0(VALU_DEP_2) | instskip(SKIP_2) | instid1(SALU_CYCLE_1)
	v_mad_nc_u64_u32 v[16:17], s33, v18, v[10:11]
	v_cmp_le_i32_e64 s0, s34, v22
	s_or_b32 s0, vcc_lo, s0
	s_nor_b32 s0, s57, s0
	v_mad_u32 v17, s50, v18, v17
	s_delay_alu instid0(VALU_DEP_1)
	v_mad_u32 v17, s33, v19, v17
	v_mov_b64_e32 v[18:19], v[14:15]
	s_branch .LBB14_14
.LBB14_13:                              ;   in Loop: Header=BB14_14 Depth=4
	s_wait_xcnt 0x0
	s_or_b32 exec_lo, exec_lo, s59
	s_delay_alu instid0(VALU_DEP_2) | instskip(SKIP_2) | instid1(SALU_CYCLE_1)
	v_add_nc_u64_e32 v[16:17], 2, v[16:17]
	v_add_nc_u64_e32 v[18:19], 2, v[18:19]
	s_add_co_i32 s58, s58, -1
	s_cmp_eq_u32 s58, 0
	s_cbranch_scc1 .LBB14_10
.LBB14_14:                              ;   Parent Loop BB14_3 Depth=1
                                        ;     Parent Loop BB14_8 Depth=2
                                        ;       Parent Loop BB14_11 Depth=3
                                        ; =>      This Inner Loop Header: Depth=4
	s_and_saveexec_b32 s59, s0
	s_cbranch_execz .LBB14_13
; %bb.15:                               ;   in Loop: Header=BB14_14 Depth=4
	global_load_u16 v22, v[16:17], off
	global_load_u16 v23, v[18:19], off
	s_wait_loadcnt 0x1
	v_cvt_f32_f16_e32 v22, v22
	s_wait_loadcnt 0x0
	v_cvt_f32_f16_e32 v24, v23
	s_delay_alu instid0(VALU_DEP_2) | instskip(NEXT) | instid1(VALU_DEP_2)
	v_cvt_f64_f32_e32 v[22:23], v22
	v_cvt_f64_f32_e32 v[24:25], v24
	s_delay_alu instid0(VALU_DEP_1)
	v_fmac_f64_e32 v[4:5], v[22:23], v[24:25]
	s_branch .LBB14_13
.LBB14_16:                              ;   in Loop: Header=BB14_3 Depth=1
	v_mad_nc_i64_i32 v[6:7], v20, s2, v[6:7]
	s_and_b32 vcc_lo, exec_lo, s55
	s_mov_b32 s0, -1
	s_delay_alu instid0(VALU_DEP_1) | instskip(NEXT) | instid1(VALU_DEP_1)
	v_add_nc_u64_e32 v[6:7], v[6:7], v[8:9]
	v_lshl_add_u64 v[6:7], v[6:7], 1, s[4:5]
	s_cbranch_vccz .LBB14_18
; %bb.17:                               ;   in Loop: Header=BB14_3 Depth=1
	global_load_u16 v2, v[6:7], off
	s_mov_b32 s0, 0
	s_wait_loadcnt 0x0
	v_cvt_f32_f16_e32 v2, v2
	s_delay_alu instid0(VALU_DEP_1) | instskip(NEXT) | instid1(VALU_DEP_1)
	v_cvt_f64_f32_e32 v[8:9], v2
	v_mul_f64_e32 v[8:9], s[26:27], v[8:9]
	s_delay_alu instid0(VALU_DEP_1) | instskip(NEXT) | instid1(VALU_DEP_1)
	v_fmac_f64_e32 v[8:9], s[24:25], v[4:5]
	v_and_or_b32 v2, 0x1ff, v9, v8
	v_lshrrev_b32_e32 v8, 8, v9
	v_bfe_u32 v10, v9, 20, 11
	s_delay_alu instid0(VALU_DEP_3) | instskip(NEXT) | instid1(VALU_DEP_2)
	v_cmp_ne_u32_e32 vcc_lo, 0, v2
	v_sub_nc_u32_e32 v11, 0x3f1, v10
	v_add_nc_u32_e32 v10, 0xfffffc10, v10
	v_cndmask_b32_e64 v2, 0, 1, vcc_lo
	s_delay_alu instid0(VALU_DEP_1) | instskip(NEXT) | instid1(VALU_DEP_4)
	v_and_or_b32 v2, 0xffe, v8, v2
	v_med3_i32 v8, v11, 0, 13
	s_delay_alu instid0(VALU_DEP_2) | instskip(NEXT) | instid1(VALU_DEP_1)
	v_or_b32_e32 v11, 0x1000, v2
	v_lshrrev_b32_e32 v12, v8, v11
	s_delay_alu instid0(VALU_DEP_1) | instskip(NEXT) | instid1(VALU_DEP_1)
	v_lshlrev_b32_e32 v8, v8, v12
	v_cmp_ne_u32_e32 vcc_lo, v8, v11
	v_lshl_or_b32 v11, v10, 12, v2
	v_cndmask_b32_e64 v8, 0, 1, vcc_lo
	v_cmp_gt_i32_e32 vcc_lo, 1, v10
	s_delay_alu instid0(VALU_DEP_2) | instskip(NEXT) | instid1(VALU_DEP_1)
	v_or_b32_e32 v8, v12, v8
	v_cndmask_b32_e32 v8, v11, v8, vcc_lo
	s_delay_alu instid0(VALU_DEP_1) | instskip(NEXT) | instid1(VALU_DEP_1)
	v_dual_lshrrev_b32 v8, 2, v8 :: v_dual_bitop2_b32 v11, 7, v8 bitop3:0x40
	v_cmp_lt_i32_e32 vcc_lo, 5, v11
	v_cndmask_b32_e64 v12, 0, 1, vcc_lo
	v_cmp_eq_u32_e32 vcc_lo, 3, v11
	v_cndmask_b32_e64 v11, 0, 1, vcc_lo
	v_cmp_ne_u32_e32 vcc_lo, 0, v2
	s_delay_alu instid0(VALU_DEP_2) | instskip(SKIP_2) | instid1(VALU_DEP_3)
	v_or_b32_e32 v11, v11, v12
	v_cndmask_b32_e32 v2, 0x7c00, v1, vcc_lo
	v_cmp_gt_i32_e32 vcc_lo, 31, v10
	v_add_nc_u32_e32 v8, v8, v11
	s_delay_alu instid0(VALU_DEP_1) | instskip(SKIP_1) | instid1(VALU_DEP_2)
	v_cndmask_b32_e32 v8, 0x7c00, v8, vcc_lo
	v_cmp_eq_u32_e32 vcc_lo, 0x40f, v10
	v_dual_cndmask_b32 v2, v8, v2, vcc_lo :: v_dual_lshrrev_b32 v8, 16, v9
	s_delay_alu instid0(VALU_DEP_1)
	v_and_or_b32 v2, 0x8000, v8, v2
	global_store_b16 v[6:7], v2, off
.LBB14_18:                              ;   in Loop: Header=BB14_3 Depth=1
	s_and_not1_b32 vcc_lo, exec_lo, s0
	s_cbranch_vccnz .LBB14_2
; %bb.19:                               ;   in Loop: Header=BB14_3 Depth=1
	s_wait_xcnt 0x0
	v_and_or_b32 v2, 0x1ff, v5, v4
	v_lshrrev_b32_e32 v4, 8, v5
	v_bfe_u32 v8, v5, 20, 11
	s_delay_alu instid0(VALU_DEP_3) | instskip(NEXT) | instid1(VALU_DEP_2)
	v_cmp_ne_u32_e32 vcc_lo, 0, v2
	v_sub_nc_u32_e32 v9, 0x3f1, v8
	v_add_nc_u32_e32 v8, 0xfffffc10, v8
	v_cndmask_b32_e64 v2, 0, 1, vcc_lo
	s_delay_alu instid0(VALU_DEP_1) | instskip(NEXT) | instid1(VALU_DEP_4)
	v_and_or_b32 v2, 0xffe, v4, v2
	v_med3_i32 v4, v9, 0, 13
	s_delay_alu instid0(VALU_DEP_2) | instskip(NEXT) | instid1(VALU_DEP_1)
	v_or_b32_e32 v9, 0x1000, v2
	v_lshrrev_b32_e32 v10, v4, v9
	s_delay_alu instid0(VALU_DEP_1) | instskip(NEXT) | instid1(VALU_DEP_1)
	v_lshlrev_b32_e32 v4, v4, v10
	v_cmp_ne_u32_e32 vcc_lo, v4, v9
	v_lshl_or_b32 v9, v8, 12, v2
	v_cndmask_b32_e64 v4, 0, 1, vcc_lo
	v_cmp_gt_i32_e32 vcc_lo, 1, v8
	s_delay_alu instid0(VALU_DEP_2) | instskip(NEXT) | instid1(VALU_DEP_1)
	v_or_b32_e32 v4, v10, v4
	v_cndmask_b32_e32 v4, v9, v4, vcc_lo
	s_delay_alu instid0(VALU_DEP_1) | instskip(NEXT) | instid1(VALU_DEP_1)
	v_dual_lshrrev_b32 v4, 2, v4 :: v_dual_bitop2_b32 v9, 7, v4 bitop3:0x40
	v_cmp_lt_i32_e32 vcc_lo, 5, v9
	v_cndmask_b32_e64 v10, 0, 1, vcc_lo
	v_cmp_eq_u32_e32 vcc_lo, 3, v9
	v_cndmask_b32_e64 v9, 0, 1, vcc_lo
	v_cmp_ne_u32_e32 vcc_lo, 0, v2
	s_delay_alu instid0(VALU_DEP_2) | instskip(SKIP_2) | instid1(VALU_DEP_3)
	v_or_b32_e32 v9, v9, v10
	v_cndmask_b32_e32 v2, 0x7c00, v1, vcc_lo
	v_cmp_gt_i32_e32 vcc_lo, 31, v8
	v_add_nc_u32_e32 v4, v4, v9
	s_delay_alu instid0(VALU_DEP_1) | instskip(SKIP_1) | instid1(VALU_DEP_2)
	v_cndmask_b32_e32 v4, 0x7c00, v4, vcc_lo
	v_cmp_eq_u32_e32 vcc_lo, 0x40f, v8
	v_dual_cndmask_b32 v2, v4, v2, vcc_lo :: v_dual_lshrrev_b32 v4, 16, v5
	s_delay_alu instid0(VALU_DEP_1)
	v_and_or_b32 v2, 0x8000, v4, v2
	global_store_b16 v[6:7], v2, off
	s_branch .LBB14_2
.LBB14_20:
	s_endpgm
	.section	.rodata,"a",@progbits
	.p2align	6, 0x0
	.amdhsa_kernel naive_conv_ab_packed_fwd_nhwc_half_double_half
		.amdhsa_group_segment_fixed_size 0
		.amdhsa_private_segment_fixed_size 0
		.amdhsa_kernarg_size 480
		.amdhsa_user_sgpr_count 2
		.amdhsa_user_sgpr_dispatch_ptr 0
		.amdhsa_user_sgpr_queue_ptr 0
		.amdhsa_user_sgpr_kernarg_segment_ptr 1
		.amdhsa_user_sgpr_dispatch_id 0
		.amdhsa_user_sgpr_kernarg_preload_length 0
		.amdhsa_user_sgpr_kernarg_preload_offset 0
		.amdhsa_user_sgpr_private_segment_size 0
		.amdhsa_wavefront_size32 1
		.amdhsa_uses_dynamic_stack 0
		.amdhsa_enable_private_segment 0
		.amdhsa_system_sgpr_workgroup_id_x 1
		.amdhsa_system_sgpr_workgroup_id_y 0
		.amdhsa_system_sgpr_workgroup_id_z 0
		.amdhsa_system_sgpr_workgroup_info 0
		.amdhsa_system_vgpr_workitem_id 0
		.amdhsa_next_free_vgpr 26
		.amdhsa_next_free_sgpr 60
		.amdhsa_named_barrier_count 0
		.amdhsa_reserve_vcc 1
		.amdhsa_float_round_mode_32 0
		.amdhsa_float_round_mode_16_64 0
		.amdhsa_float_denorm_mode_32 3
		.amdhsa_float_denorm_mode_16_64 3
		.amdhsa_fp16_overflow 0
		.amdhsa_memory_ordered 1
		.amdhsa_forward_progress 1
		.amdhsa_inst_pref_size 17
		.amdhsa_round_robin_scheduling 0
		.amdhsa_exception_fp_ieee_invalid_op 0
		.amdhsa_exception_fp_denorm_src 0
		.amdhsa_exception_fp_ieee_div_zero 0
		.amdhsa_exception_fp_ieee_overflow 0
		.amdhsa_exception_fp_ieee_underflow 0
		.amdhsa_exception_fp_ieee_inexact 0
		.amdhsa_exception_int_div_zero 0
	.end_amdhsa_kernel
	.text
.Lfunc_end14:
	.size	naive_conv_ab_packed_fwd_nhwc_half_double_half, .Lfunc_end14-naive_conv_ab_packed_fwd_nhwc_half_double_half
                                        ; -- End function
	.set naive_conv_ab_packed_fwd_nhwc_half_double_half.num_vgpr, 26
	.set naive_conv_ab_packed_fwd_nhwc_half_double_half.num_agpr, 0
	.set naive_conv_ab_packed_fwd_nhwc_half_double_half.numbered_sgpr, 60
	.set naive_conv_ab_packed_fwd_nhwc_half_double_half.num_named_barrier, 0
	.set naive_conv_ab_packed_fwd_nhwc_half_double_half.private_seg_size, 0
	.set naive_conv_ab_packed_fwd_nhwc_half_double_half.uses_vcc, 1
	.set naive_conv_ab_packed_fwd_nhwc_half_double_half.uses_flat_scratch, 0
	.set naive_conv_ab_packed_fwd_nhwc_half_double_half.has_dyn_sized_stack, 0
	.set naive_conv_ab_packed_fwd_nhwc_half_double_half.has_recursion, 0
	.set naive_conv_ab_packed_fwd_nhwc_half_double_half.has_indirect_call, 0
	.section	.AMDGPU.csdata,"",@progbits
; Kernel info:
; codeLenInByte = 2060
; TotalNumSgprs: 62
; NumVgprs: 26
; ScratchSize: 0
; MemoryBound: 0
; FloatMode: 240
; IeeeMode: 1
; LDSByteSize: 0 bytes/workgroup (compile time only)
; SGPRBlocks: 0
; VGPRBlocks: 1
; NumSGPRsForWavesPerEU: 62
; NumVGPRsForWavesPerEU: 26
; NamedBarCnt: 0
; Occupancy: 16
; WaveLimiterHint : 0
; COMPUTE_PGM_RSRC2:SCRATCH_EN: 0
; COMPUTE_PGM_RSRC2:USER_SGPR: 2
; COMPUTE_PGM_RSRC2:TRAP_HANDLER: 0
; COMPUTE_PGM_RSRC2:TGID_X_EN: 1
; COMPUTE_PGM_RSRC2:TGID_Y_EN: 0
; COMPUTE_PGM_RSRC2:TGID_Z_EN: 0
; COMPUTE_PGM_RSRC2:TIDIG_COMP_CNT: 0
	.text
	.protected	naive_conv_ab_nonpacked_fwd_nhwc_half_double_half ; -- Begin function naive_conv_ab_nonpacked_fwd_nhwc_half_double_half
	.globl	naive_conv_ab_nonpacked_fwd_nhwc_half_double_half
	.p2align	8
	.type	naive_conv_ab_nonpacked_fwd_nhwc_half_double_half,@function
naive_conv_ab_nonpacked_fwd_nhwc_half_double_half: ; @naive_conv_ab_nonpacked_fwd_nhwc_half_double_half
; %bb.0:
	s_load_b512 s[4:19], s[0:1], 0xa0
	s_bfe_u32 s2, ttmp6, 0x4000c
	s_and_b32 s3, ttmp6, 15
	s_add_co_i32 s2, s2, 1
	s_getreg_b32 s20, hwreg(HW_REG_IB_STS2, 6, 4)
	s_mul_i32 s2, ttmp9, s2
	s_delay_alu instid0(SALU_CYCLE_1) | instskip(SKIP_2) | instid1(SALU_CYCLE_1)
	s_add_co_i32 s3, s3, s2
	s_cmp_eq_u32 s20, 0
	s_cselect_b32 s33, ttmp9, s3
	s_abs_i32 s21, s33
	s_wait_kmcnt 0x0
	s_abs_i32 s2, s9
	s_delay_alu instid0(SALU_CYCLE_1) | instskip(SKIP_1) | instid1(SALU_CYCLE_2)
	s_cvt_f32_u32 s3, s2
	s_sub_co_i32 s20, 0, s2
	v_rcp_iflag_f32_e32 v1, s3
	v_nop
	s_delay_alu instid0(TRANS32_DEP_1) | instskip(SKIP_1) | instid1(SALU_CYCLE_3)
	v_readfirstlane_b32 s3, v1
	s_mul_f32 s3, s3, 0x4f7ffffe
	s_cvt_u32_f32 s3, s3
	s_delay_alu instid0(SALU_CYCLE_3) | instskip(NEXT) | instid1(SALU_CYCLE_1)
	s_mul_i32 s20, s20, s3
	s_mul_hi_u32 s20, s3, s20
	s_delay_alu instid0(SALU_CYCLE_1) | instskip(NEXT) | instid1(SALU_CYCLE_1)
	s_add_co_i32 s3, s3, s20
	s_mul_hi_u32 s3, s21, s3
	s_delay_alu instid0(SALU_CYCLE_1) | instskip(NEXT) | instid1(SALU_CYCLE_1)
	s_mul_i32 s20, s3, s2
	s_sub_co_i32 s20, s21, s20
	s_add_co_i32 s21, s3, 1
	s_sub_co_i32 s22, s20, s2
	s_cmp_ge_u32 s20, s2
	s_cselect_b32 s3, s21, s3
	s_cselect_b32 s20, s22, s20
	s_add_co_i32 s21, s3, 1
	s_cmp_ge_u32 s20, s2
	s_mov_b32 s20, exec_lo
	s_cselect_b32 s2, s21, s3
	s_abs_i32 s34, s6
	s_mul_i32 s6, s19, s7
	s_cvt_f32_u32 s3, s34
	s_mul_i32 s19, s6, s10
	s_delay_alu instid0(SALU_CYCLE_2) | instskip(SKIP_2) | instid1(TRANS32_DEP_1)
	v_rcp_iflag_f32_e32 v1, s3
	s_mov_b32 s3, 0
	v_nop
	v_readfirstlane_b32 s10, v1
	v_cmpx_gt_i32_e64 s19, v0
	s_cbranch_execz .LBB15_20
; %bb.1:
	s_mul_f32 s10, s10, 0x4f7ffffe
	s_xor_b32 s28, s33, s9
	s_sub_co_i32 s30, 0, s34
	s_ashr_i32 s28, s28, 31
	s_cvt_u32_f32 s10, s10
	s_xor_b32 s2, s2, s28
	s_mov_b32 s29, s3
	s_sub_co_i32 s35, s2, s28
	s_mul_i32 s30, s30, s10
	s_abs_i32 s2, s35
	s_mul_hi_u32 s28, s10, s30
	s_ashr_i32 s40, s35, 31
	s_add_co_i32 s28, s10, s28
	s_mul_i32 s35, s35, s9
	s_mul_u64 s[36:37], s[2:3], s[28:29]
	s_clause 0x1
	s_load_b64 s[38:39], s[0:1], 0x98
	s_load_b128 s[28:31], s[0:1], 0x88
	s_mul_i32 s10, s37, s34
	s_load_b256 s[20:27], s[0:1], 0x0
	s_sub_co_i32 s2, s2, s10
	s_sub_co_i32 s10, s33, s35
	;; [unrolled: 1-line block ×3, first 2 shown]
	s_cmp_ge_u32 s2, s34
	s_mul_i32 s33, s10, s11
	s_cselect_b32 s2, s9, s2
	s_load_b256 s[52:59], s[0:1], 0x68
	s_sub_co_i32 s9, s2, s34
	s_cmp_ge_u32 s2, s34
	s_load_b64 s[34:35], s[0:1], 0x20
	s_cselect_b32 s2, s9, s2
	s_ashr_i32 s11, s10, 31
	s_xor_b32 s2, s2, s40
	s_load_b32 s63, s[0:1], 0xec
	s_sub_co_i32 s66, s2, s40
	v_dual_mov_b32 v3, 0 :: v_dual_mov_b32 v22, 0x7e00
	s_ashr_i32 s67, s66, 31
	s_wait_kmcnt 0x0
	s_mul_u64 s[10:11], s[30:31], s[10:11]
	s_mul_u64 s[30:31], s[38:39], s[66:67]
	s_lshl_b64 s[64:65], s[10:11], 1
	s_lshl_b64 s[10:11], s[30:31], 1
	s_cmp_lt_i32 s17, 1
	v_cmp_neq_f64_e64 s68, s[24:25], 1.0
	s_cselect_b32 s9, -1, 0
	s_sub_co_i32 s15, s33, s15
	v_cmp_neq_f64_e64 s2, s[26:27], 0
	s_cmp_gt_i32 s18, 0
	s_load_b512 s[36:51], s[0:1], 0x28
	s_cselect_b32 s33, -1, 0
	s_cmp_gt_i32 s8, 0
	s_wait_xcnt 0x0
	s_add_nc_u64 s[0:1], s[34:35], s[10:11]
	s_cselect_b32 s60, -1, 0
	s_abs_i32 s61, s6
	s_abs_i32 s62, s7
	s_cvt_f32_u32 s30, s61
	s_cvt_f32_u32 s31, s62
	s_lshl_b64 s[34:35], s[52:53], 1
	s_sub_co_i32 s52, 0, s61
	v_rcp_iflag_f32_e32 v1, s30
	v_rcp_iflag_f32_e32 v2, s31
	s_add_nc_u64 s[30:31], s[0:1], s[64:65]
	s_sub_co_i32 s53, 0, s62
	s_mov_b32 s11, s3
	s_and_b32 s1, s63, 0xffff
	s_ashr_i32 s63, s6, 31
	v_readfirstlane_b32 s0, v1
	v_readfirstlane_b32 s10, v2
	s_ashr_i32 s64, s7, 31
	s_wait_kmcnt 0x0
	s_lshl_b64 s[50:51], s[50:51], 1
	s_lshl_b64 s[46:47], s[46:47], 1
	s_mul_f32 s0, s0, 0x4f7ffffe
	s_mul_f32 s10, s10, 0x4f7ffffe
	s_lshl_b64 s[38:39], s[38:39], 1
	s_lshl_b64 s[42:43], s[42:43], 1
	s_cvt_u32_f32 s0, s0
	s_cvt_u32_f32 s10, s10
	s_lshl_b64 s[40:41], s[40:41], 1
	s_or_b32 s65, s68, s2
	s_mul_i32 s52, s52, s0
	s_mul_i32 s53, s53, s10
	s_mul_hi_u32 s2, s0, s52
	s_mul_hi_u32 s52, s10, s53
	s_add_co_i32 s2, s0, s2
	s_add_co_i32 s10, s10, s52
	s_lshl_b64 s[52:53], s[54:55], 1
	s_mul_u64 s[54:55], s[44:45], s[66:67]
	s_lshl_b64 s[44:45], s[48:49], 1
	s_lshl_b64 s[48:49], s[54:55], 1
	;; [unrolled: 1-line block ×3, first 2 shown]
	s_add_nc_u64 s[20:21], s[20:21], s[48:49]
	s_mov_b32 s48, s3
	s_branch .LBB15_3
.LBB15_2:                               ;   in Loop: Header=BB15_3 Depth=1
	v_add_nc_u32_e32 v0, s1, v0
	s_delay_alu instid0(VALU_DEP_1)
	v_cmp_le_i32_e32 vcc_lo, s19, v0
	s_or_b32 s48, vcc_lo, s48
	s_wait_xcnt 0x0
	s_and_not1_b32 exec_lo, exec_lo, s48
	s_cbranch_execz .LBB15_20
.LBB15_3:                               ; =>This Loop Header: Depth=1
                                        ;     Child Loop BB15_8 Depth 2
                                        ;       Child Loop BB15_11 Depth 3
                                        ;         Child Loop BB15_14 Depth 4
	v_sub_nc_u32_e32 v1, 0, v0
	s_mov_b32 s0, -1
	s_delay_alu instid0(VALU_DEP_1) | instskip(NEXT) | instid1(VALU_DEP_1)
	v_max_i32_e32 v2, v0, v1
	v_mul_u64_e32 v[4:5], s[2:3], v[2:3]
	s_delay_alu instid0(VALU_DEP_1) | instskip(NEXT) | instid1(VALU_DEP_1)
	v_mul_lo_u32 v1, v5, s61
	v_sub_nc_u32_e32 v1, v2, v1
	v_add_nc_u32_e32 v2, 1, v5
	s_delay_alu instid0(VALU_DEP_2) | instskip(NEXT) | instid1(VALU_DEP_2)
	v_cmp_le_u32_e32 vcc_lo, s61, v1
	v_cndmask_b32_e32 v2, v5, v2, vcc_lo
	v_subrev_nc_u32_e32 v4, s61, v1
	v_ashrrev_i32_e32 v5, 31, v0
	s_delay_alu instid0(VALU_DEP_2) | instskip(NEXT) | instid1(VALU_DEP_1)
	v_dual_cndmask_b32 v1, v1, v4 :: v_dual_add_nc_u32 v4, 1, v2
	v_cmp_le_u32_e32 vcc_lo, s61, v1
	s_delay_alu instid0(VALU_DEP_2) | instskip(NEXT) | instid1(VALU_DEP_1)
	v_dual_cndmask_b32 v1, v2, v4, vcc_lo :: v_dual_bitop2_b32 v5, s63, v5 bitop3:0x14
	v_xor_b32_e32 v1, v1, v5
	s_delay_alu instid0(VALU_DEP_1) | instskip(NEXT) | instid1(VALU_DEP_1)
	v_sub_nc_u32_e32 v6, v1, v5
	v_mul_lo_u32 v1, v6, s6
	s_delay_alu instid0(VALU_DEP_1) | instskip(NEXT) | instid1(VALU_DEP_1)
	v_sub_nc_u32_e32 v10, v0, v1
	v_sub_nc_u32_e32 v1, 0, v10
	s_delay_alu instid0(VALU_DEP_1) | instskip(NEXT) | instid1(VALU_DEP_1)
	v_max_i32_e32 v2, v10, v1
	v_mul_u64_e32 v[4:5], s[10:11], v[2:3]
	s_delay_alu instid0(VALU_DEP_1) | instskip(NEXT) | instid1(VALU_DEP_1)
	v_mul_lo_u32 v1, v5, s62
	v_sub_nc_u32_e32 v1, v2, v1
	v_dual_add_nc_u32 v2, 1, v5 :: v_dual_ashrrev_i32 v11, 31, v10
	s_delay_alu instid0(VALU_DEP_2) | instskip(SKIP_1) | instid1(VALU_DEP_3)
	v_subrev_nc_u32_e32 v4, s62, v1
	v_cmp_le_u32_e32 vcc_lo, s62, v1
	v_dual_cndmask_b32 v2, v5, v2, vcc_lo :: v_dual_bitop2_b32 v5, s64, v11 bitop3:0x14
	s_delay_alu instid0(VALU_DEP_1) | instskip(NEXT) | instid1(VALU_DEP_1)
	v_dual_cndmask_b32 v1, v1, v4 :: v_dual_add_nc_u32 v4, 1, v2
	v_cmp_le_u32_e32 vcc_lo, s62, v1
	s_delay_alu instid0(VALU_DEP_2) | instskip(SKIP_1) | instid1(VALU_DEP_1)
	v_cndmask_b32_e32 v1, v2, v4, vcc_lo
	s_and_not1_b32 vcc_lo, exec_lo, s9
	v_xor_b32_e32 v1, v1, v5
	s_delay_alu instid0(VALU_DEP_1) | instskip(NEXT) | instid1(VALU_DEP_1)
	v_sub_nc_u32_e32 v8, v1, v5
	v_mul_lo_u32 v12, v8, s7
	s_delay_alu instid0(VALU_DEP_1) | instskip(NEXT) | instid1(VALU_DEP_1)
	v_sub_nc_u32_e32 v2, v10, v12
	v_dual_ashrrev_i32 v1, 31, v2 :: v_dual_ashrrev_i32 v9, 31, v8
	s_cbranch_vccnz .LBB15_5
; %bb.4:                                ;   in Loop: Header=BB15_3 Depth=1
	s_mov_b32 s0, 0
.LBB15_5:                               ;   in Loop: Header=BB15_3 Depth=1
	v_mov_b64_e32 v[4:5], 0
	s_and_not1_b32 vcc_lo, exec_lo, s0
	s_cbranch_vccnz .LBB15_16
; %bb.6:                                ;   in Loop: Header=BB15_3 Depth=1
	v_mul_u64_e32 v[4:5], s[52:53], v[8:9]
	v_ashrrev_i32_e32 v13, 31, v12
	v_mul_lo_u32 v14, v6, s12
	s_mov_b32 s49, 0
	s_mov_b32 s54, s15
	s_delay_alu instid0(VALU_DEP_2) | instskip(SKIP_1) | instid1(VALU_DEP_1)
	v_sub_nc_u64_e32 v[12:13], v[10:11], v[12:13]
	v_mad_nc_u64_u32 v[10:11], s38, v8, s[20:21]
	v_mad_u32 v7, s39, v8, v11
	s_delay_alu instid0(VALU_DEP_1) | instskip(SKIP_2) | instid1(VALU_DEP_1)
	v_mad_u32 v11, s38, v9, v7
	v_subrev_nc_u32_e32 v7, s16, v14
	v_mad_nc_u64_u32 v[4:5], s34, v12, v[4:5]
	v_mad_u32 v5, s35, v12, v5
	s_delay_alu instid0(VALU_DEP_1) | instskip(NEXT) | instid1(VALU_DEP_1)
	v_mad_u32 v5, s34, v13, v5
	v_add_nc_u64_e32 v[12:13], s[22:23], v[4:5]
	v_mov_b64_e32 v[4:5], 0
	s_branch .LBB15_8
.LBB15_7:                               ;   in Loop: Header=BB15_8 Depth=2
	s_delay_alu instid0(VALU_DEP_1)
	v_add_nc_u64_e32 v[12:13], s[50:51], v[12:13]
	s_add_co_i32 s49, s49, 1
	s_add_co_i32 s54, s54, s13
	s_cmp_eq_u32 s49, s17
	s_cbranch_scc1 .LBB15_16
.LBB15_8:                               ;   Parent Loop BB15_3 Depth=1
                                        ; =>  This Loop Header: Depth=2
                                        ;       Child Loop BB15_11 Depth 3
                                        ;         Child Loop BB15_14 Depth 4
	s_and_not1_b32 vcc_lo, exec_lo, s33
	s_cbranch_vccnz .LBB15_7
; %bb.9:                                ;   in Loop: Header=BB15_8 Depth=2
	v_mad_nc_u64_u32 v[14:15], s42, s54, v[10:11]
	s_mul_i32 s0, s49, s13
	v_mov_b64_e32 v[16:17], v[12:13]
	s_add_co_i32 s0, s0, s15
	v_mov_b32_e32 v23, v7
	s_cmp_lt_i32 s0, 0
	s_mov_b32 s55, 0
	s_cselect_b32 s66, -1, 0
	s_cmp_ge_i32 s0, s4
	s_cselect_b32 s0, -1, 0
	s_delay_alu instid0(VALU_DEP_3)
	v_mad_u32 v15, s43, s54, v15
	s_or_b32 s66, s66, s0
	s_branch .LBB15_11
.LBB15_10:                              ;   in Loop: Header=BB15_11 Depth=3
	v_add_nc_u64_e32 v[16:17], s[44:45], v[16:17]
	v_add_nc_u32_e32 v23, s14, v23
	s_add_co_i32 s55, s55, 1
	s_delay_alu instid0(SALU_CYCLE_1)
	s_cmp_eq_u32 s55, s18
	s_cbranch_scc1 .LBB15_7
.LBB15_11:                              ;   Parent Loop BB15_3 Depth=1
                                        ;     Parent Loop BB15_8 Depth=2
                                        ; =>    This Loop Header: Depth=3
                                        ;         Child Loop BB15_14 Depth 4
	s_and_not1_b32 vcc_lo, exec_lo, s60
	s_cbranch_vccnz .LBB15_10
; %bb.12:                               ;   in Loop: Header=BB15_11 Depth=3
	s_delay_alu instid0(VALU_DEP_1) | instskip(SKIP_2) | instid1(VALU_DEP_2)
	v_mad_nc_u64_u32 v[18:19], s40, v23, v[14:15]
	v_mad_u32 v20, s55, s14, v7
	s_mov_b32 s67, s8
	v_mad_u32 v19, s41, v23, v19
	s_delay_alu instid0(VALU_DEP_2) | instskip(SKIP_3) | instid1(SALU_CYCLE_1)
	v_cmp_gt_i32_e32 vcc_lo, 0, v20
	v_cmp_le_i32_e64 s0, s5, v20
	v_mov_b64_e32 v[20:21], v[16:17]
	s_or_b32 s0, vcc_lo, s0
	s_nor_b32 s0, s66, s0
	s_branch .LBB15_14
.LBB15_13:                              ;   in Loop: Header=BB15_14 Depth=4
	s_wait_xcnt 0x0
	s_or_b32 exec_lo, exec_lo, s68
	v_add_nc_u64_e32 v[20:21], s[46:47], v[20:21]
	v_add_nc_u64_e32 v[18:19], s[36:37], v[18:19]
	s_add_co_i32 s67, s67, -1
	s_delay_alu instid0(SALU_CYCLE_1)
	s_cmp_eq_u32 s67, 0
	s_cbranch_scc1 .LBB15_10
.LBB15_14:                              ;   Parent Loop BB15_3 Depth=1
                                        ;     Parent Loop BB15_8 Depth=2
                                        ;       Parent Loop BB15_11 Depth=3
                                        ; =>      This Inner Loop Header: Depth=4
	s_and_saveexec_b32 s68, s0
	s_cbranch_execz .LBB15_13
; %bb.15:                               ;   in Loop: Header=BB15_14 Depth=4
	global_load_u16 v24, v[18:19], off
	global_load_u16 v25, v[20:21], off
	s_wait_loadcnt 0x1
	v_cvt_f32_f16_e32 v24, v24
	s_wait_loadcnt 0x0
	v_cvt_f32_f16_e32 v26, v25
	s_delay_alu instid0(VALU_DEP_2) | instskip(NEXT) | instid1(VALU_DEP_2)
	v_cvt_f64_f32_e32 v[24:25], v24
	v_cvt_f64_f32_e32 v[26:27], v26
	s_delay_alu instid0(VALU_DEP_1)
	v_fmac_f64_e32 v[4:5], v[24:25], v[26:27]
	s_branch .LBB15_13
.LBB15_16:                              ;   in Loop: Header=BB15_3 Depth=1
	v_ashrrev_i32_e32 v7, 31, v6
	s_and_b32 vcc_lo, exec_lo, s65
	s_mov_b32 s0, -1
	s_delay_alu instid0(VALU_DEP_1) | instskip(NEXT) | instid1(VALU_DEP_1)
	v_mul_u64_e32 v[6:7], s[28:29], v[6:7]
	v_mad_nc_u64_u32 v[6:7], v2, s56, v[6:7]
	s_delay_alu instid0(VALU_DEP_1) | instskip(NEXT) | instid1(VALU_DEP_1)
	v_mad_u32 v1, v1, s56, v7
	v_mad_u32 v7, v2, s57, v1
	s_delay_alu instid0(VALU_DEP_1) | instskip(NEXT) | instid1(VALU_DEP_1)
	v_mad_nc_u64_u32 v[6:7], v8, s58, v[6:7]
	v_mad_u32 v1, v9, s58, v7
	s_delay_alu instid0(VALU_DEP_1) | instskip(NEXT) | instid1(VALU_DEP_1)
	v_mad_u32 v7, v8, s59, v1
	v_lshl_add_u64 v[6:7], v[6:7], 1, s[30:31]
	s_cbranch_vccz .LBB15_18
; %bb.17:                               ;   in Loop: Header=BB15_3 Depth=1
	global_load_u16 v1, v[6:7], off
	s_mov_b32 s0, 0
	s_wait_loadcnt 0x0
	v_cvt_f32_f16_e32 v1, v1
	s_delay_alu instid0(VALU_DEP_1) | instskip(NEXT) | instid1(VALU_DEP_1)
	v_cvt_f64_f32_e32 v[8:9], v1
	v_mul_f64_e32 v[8:9], s[26:27], v[8:9]
	s_delay_alu instid0(VALU_DEP_1) | instskip(NEXT) | instid1(VALU_DEP_1)
	v_fmac_f64_e32 v[8:9], s[24:25], v[4:5]
	v_and_or_b32 v1, 0x1ff, v9, v8
	v_lshrrev_b32_e32 v2, 8, v9
	v_bfe_u32 v8, v9, 20, 11
	s_delay_alu instid0(VALU_DEP_3) | instskip(NEXT) | instid1(VALU_DEP_2)
	v_cmp_ne_u32_e32 vcc_lo, 0, v1
	v_sub_nc_u32_e32 v10, 0x3f1, v8
	v_add_nc_u32_e32 v8, 0xfffffc10, v8
	v_cndmask_b32_e64 v1, 0, 1, vcc_lo
	s_delay_alu instid0(VALU_DEP_1) | instskip(NEXT) | instid1(VALU_DEP_4)
	v_and_or_b32 v1, 0xffe, v2, v1
	v_med3_i32 v2, v10, 0, 13
	s_delay_alu instid0(VALU_DEP_2) | instskip(NEXT) | instid1(VALU_DEP_1)
	v_or_b32_e32 v10, 0x1000, v1
	v_lshrrev_b32_e32 v11, v2, v10
	s_delay_alu instid0(VALU_DEP_1) | instskip(NEXT) | instid1(VALU_DEP_1)
	v_lshlrev_b32_e32 v2, v2, v11
	v_cmp_ne_u32_e32 vcc_lo, v2, v10
	v_lshl_or_b32 v10, v8, 12, v1
	v_cndmask_b32_e64 v2, 0, 1, vcc_lo
	v_cmp_gt_i32_e32 vcc_lo, 1, v8
	s_delay_alu instid0(VALU_DEP_2) | instskip(NEXT) | instid1(VALU_DEP_1)
	v_or_b32_e32 v2, v11, v2
	v_cndmask_b32_e32 v2, v10, v2, vcc_lo
	s_delay_alu instid0(VALU_DEP_1) | instskip(NEXT) | instid1(VALU_DEP_1)
	v_dual_lshrrev_b32 v2, 2, v2 :: v_dual_bitop2_b32 v10, 7, v2 bitop3:0x40
	v_cmp_lt_i32_e32 vcc_lo, 5, v10
	v_cndmask_b32_e64 v11, 0, 1, vcc_lo
	v_cmp_eq_u32_e32 vcc_lo, 3, v10
	v_cndmask_b32_e64 v10, 0, 1, vcc_lo
	v_cmp_ne_u32_e32 vcc_lo, 0, v1
	s_delay_alu instid0(VALU_DEP_2) | instskip(SKIP_2) | instid1(VALU_DEP_3)
	v_or_b32_e32 v10, v10, v11
	v_cndmask_b32_e32 v1, 0x7c00, v22, vcc_lo
	v_cmp_gt_i32_e32 vcc_lo, 31, v8
	v_add_nc_u32_e32 v2, v2, v10
	s_delay_alu instid0(VALU_DEP_1) | instskip(SKIP_1) | instid1(VALU_DEP_2)
	v_cndmask_b32_e32 v2, 0x7c00, v2, vcc_lo
	v_cmp_eq_u32_e32 vcc_lo, 0x40f, v8
	v_cndmask_b32_e32 v1, v2, v1, vcc_lo
	v_lshrrev_b32_e32 v2, 16, v9
	s_delay_alu instid0(VALU_DEP_1)
	v_and_or_b32 v1, 0x8000, v2, v1
	global_store_b16 v[6:7], v1, off
.LBB15_18:                              ;   in Loop: Header=BB15_3 Depth=1
	s_and_not1_b32 vcc_lo, exec_lo, s0
	s_cbranch_vccnz .LBB15_2
; %bb.19:                               ;   in Loop: Header=BB15_3 Depth=1
	s_wait_xcnt 0x0
	v_and_or_b32 v1, 0x1ff, v5, v4
	v_lshrrev_b32_e32 v2, 8, v5
	v_bfe_u32 v4, v5, 20, 11
	s_delay_alu instid0(VALU_DEP_3) | instskip(NEXT) | instid1(VALU_DEP_2)
	v_cmp_ne_u32_e32 vcc_lo, 0, v1
	v_sub_nc_u32_e32 v8, 0x3f1, v4
	v_add_nc_u32_e32 v4, 0xfffffc10, v4
	v_cndmask_b32_e64 v1, 0, 1, vcc_lo
	s_delay_alu instid0(VALU_DEP_1) | instskip(NEXT) | instid1(VALU_DEP_4)
	v_and_or_b32 v1, 0xffe, v2, v1
	v_med3_i32 v2, v8, 0, 13
	s_delay_alu instid0(VALU_DEP_2) | instskip(NEXT) | instid1(VALU_DEP_1)
	v_or_b32_e32 v8, 0x1000, v1
	v_lshrrev_b32_e32 v9, v2, v8
	s_delay_alu instid0(VALU_DEP_1) | instskip(NEXT) | instid1(VALU_DEP_1)
	v_lshlrev_b32_e32 v2, v2, v9
	v_cmp_ne_u32_e32 vcc_lo, v2, v8
	v_lshl_or_b32 v8, v4, 12, v1
	v_cndmask_b32_e64 v2, 0, 1, vcc_lo
	v_cmp_gt_i32_e32 vcc_lo, 1, v4
	s_delay_alu instid0(VALU_DEP_2) | instskip(NEXT) | instid1(VALU_DEP_1)
	v_or_b32_e32 v2, v9, v2
	v_cndmask_b32_e32 v2, v8, v2, vcc_lo
	s_delay_alu instid0(VALU_DEP_1) | instskip(NEXT) | instid1(VALU_DEP_1)
	v_dual_lshrrev_b32 v2, 2, v2 :: v_dual_bitop2_b32 v8, 7, v2 bitop3:0x40
	v_cmp_lt_i32_e32 vcc_lo, 5, v8
	v_cndmask_b32_e64 v9, 0, 1, vcc_lo
	v_cmp_eq_u32_e32 vcc_lo, 3, v8
	v_cndmask_b32_e64 v8, 0, 1, vcc_lo
	v_cmp_ne_u32_e32 vcc_lo, 0, v1
	s_delay_alu instid0(VALU_DEP_2) | instskip(SKIP_2) | instid1(VALU_DEP_3)
	v_or_b32_e32 v8, v8, v9
	v_cndmask_b32_e32 v1, 0x7c00, v22, vcc_lo
	v_cmp_gt_i32_e32 vcc_lo, 31, v4
	v_add_nc_u32_e32 v2, v2, v8
	s_delay_alu instid0(VALU_DEP_1) | instskip(SKIP_1) | instid1(VALU_DEP_2)
	v_cndmask_b32_e32 v2, 0x7c00, v2, vcc_lo
	v_cmp_eq_u32_e32 vcc_lo, 0x40f, v4
	v_cndmask_b32_e32 v1, v2, v1, vcc_lo
	v_lshrrev_b32_e32 v2, 16, v5
	s_delay_alu instid0(VALU_DEP_1)
	v_and_or_b32 v1, 0x8000, v2, v1
	global_store_b16 v[6:7], v1, off
	s_branch .LBB15_2
.LBB15_20:
	s_endpgm
	.section	.rodata,"a",@progbits
	.p2align	6, 0x0
	.amdhsa_kernel naive_conv_ab_nonpacked_fwd_nhwc_half_double_half
		.amdhsa_group_segment_fixed_size 0
		.amdhsa_private_segment_fixed_size 0
		.amdhsa_kernarg_size 480
		.amdhsa_user_sgpr_count 2
		.amdhsa_user_sgpr_dispatch_ptr 0
		.amdhsa_user_sgpr_queue_ptr 0
		.amdhsa_user_sgpr_kernarg_segment_ptr 1
		.amdhsa_user_sgpr_dispatch_id 0
		.amdhsa_user_sgpr_kernarg_preload_length 0
		.amdhsa_user_sgpr_kernarg_preload_offset 0
		.amdhsa_user_sgpr_private_segment_size 0
		.amdhsa_wavefront_size32 1
		.amdhsa_uses_dynamic_stack 0
		.amdhsa_enable_private_segment 0
		.amdhsa_system_sgpr_workgroup_id_x 1
		.amdhsa_system_sgpr_workgroup_id_y 0
		.amdhsa_system_sgpr_workgroup_id_z 0
		.amdhsa_system_sgpr_workgroup_info 0
		.amdhsa_system_vgpr_workitem_id 0
		.amdhsa_next_free_vgpr 28
		.amdhsa_next_free_sgpr 69
		.amdhsa_named_barrier_count 0
		.amdhsa_reserve_vcc 1
		.amdhsa_float_round_mode_32 0
		.amdhsa_float_round_mode_16_64 0
		.amdhsa_float_denorm_mode_32 3
		.amdhsa_float_denorm_mode_16_64 3
		.amdhsa_fp16_overflow 0
		.amdhsa_memory_ordered 1
		.amdhsa_forward_progress 1
		.amdhsa_inst_pref_size 16
		.amdhsa_round_robin_scheduling 0
		.amdhsa_exception_fp_ieee_invalid_op 0
		.amdhsa_exception_fp_denorm_src 0
		.amdhsa_exception_fp_ieee_div_zero 0
		.amdhsa_exception_fp_ieee_overflow 0
		.amdhsa_exception_fp_ieee_underflow 0
		.amdhsa_exception_fp_ieee_inexact 0
		.amdhsa_exception_int_div_zero 0
	.end_amdhsa_kernel
	.text
.Lfunc_end15:
	.size	naive_conv_ab_nonpacked_fwd_nhwc_half_double_half, .Lfunc_end15-naive_conv_ab_nonpacked_fwd_nhwc_half_double_half
                                        ; -- End function
	.set naive_conv_ab_nonpacked_fwd_nhwc_half_double_half.num_vgpr, 28
	.set naive_conv_ab_nonpacked_fwd_nhwc_half_double_half.num_agpr, 0
	.set naive_conv_ab_nonpacked_fwd_nhwc_half_double_half.numbered_sgpr, 69
	.set naive_conv_ab_nonpacked_fwd_nhwc_half_double_half.num_named_barrier, 0
	.set naive_conv_ab_nonpacked_fwd_nhwc_half_double_half.private_seg_size, 0
	.set naive_conv_ab_nonpacked_fwd_nhwc_half_double_half.uses_vcc, 1
	.set naive_conv_ab_nonpacked_fwd_nhwc_half_double_half.uses_flat_scratch, 0
	.set naive_conv_ab_nonpacked_fwd_nhwc_half_double_half.has_dyn_sized_stack, 0
	.set naive_conv_ab_nonpacked_fwd_nhwc_half_double_half.has_recursion, 0
	.set naive_conv_ab_nonpacked_fwd_nhwc_half_double_half.has_indirect_call, 0
	.section	.AMDGPU.csdata,"",@progbits
; Kernel info:
; codeLenInByte = 2048
; TotalNumSgprs: 71
; NumVgprs: 28
; ScratchSize: 0
; MemoryBound: 0
; FloatMode: 240
; IeeeMode: 1
; LDSByteSize: 0 bytes/workgroup (compile time only)
; SGPRBlocks: 0
; VGPRBlocks: 1
; NumSGPRsForWavesPerEU: 71
; NumVGPRsForWavesPerEU: 28
; NamedBarCnt: 0
; Occupancy: 16
; WaveLimiterHint : 0
; COMPUTE_PGM_RSRC2:SCRATCH_EN: 0
; COMPUTE_PGM_RSRC2:USER_SGPR: 2
; COMPUTE_PGM_RSRC2:TRAP_HANDLER: 0
; COMPUTE_PGM_RSRC2:TGID_X_EN: 1
; COMPUTE_PGM_RSRC2:TGID_Y_EN: 0
; COMPUTE_PGM_RSRC2:TGID_Z_EN: 0
; COMPUTE_PGM_RSRC2:TIDIG_COMP_CNT: 0
	.text
	.protected	naive_conv_ab_packed_fwd_nhwc_ushort_double_ushort ; -- Begin function naive_conv_ab_packed_fwd_nhwc_ushort_double_ushort
	.globl	naive_conv_ab_packed_fwd_nhwc_ushort_double_ushort
	.p2align	8
	.type	naive_conv_ab_packed_fwd_nhwc_ushort_double_ushort,@function
naive_conv_ab_packed_fwd_nhwc_ushort_double_ushort: ; @naive_conv_ab_packed_fwd_nhwc_ushort_double_ushort
; %bb.0:
	s_load_b512 s[4:19], s[0:1], 0xa0
	s_bfe_u32 s2, ttmp6, 0x4000c
	s_and_b32 s3, ttmp6, 15
	s_add_co_i32 s2, s2, 1
	s_getreg_b32 s20, hwreg(HW_REG_IB_STS2, 6, 4)
	s_mul_i32 s2, ttmp9, s2
	s_mov_b32 s29, 0
	s_add_co_i32 s3, s3, s2
	s_cmp_eq_u32 s20, 0
	s_cselect_b32 s30, ttmp9, s3
	s_delay_alu instid0(SALU_CYCLE_1) | instskip(SKIP_2) | instid1(SALU_CYCLE_1)
	s_abs_i32 s21, s30
	s_wait_kmcnt 0x0
	s_abs_i32 s2, s9
	s_cvt_f32_u32 s3, s2
	s_sub_co_i32 s20, 0, s2
	s_delay_alu instid0(SALU_CYCLE_2) | instskip(SKIP_1) | instid1(TRANS32_DEP_1)
	v_rcp_iflag_f32_e32 v1, s3
	v_nop
	v_readfirstlane_b32 s3, v1
	s_mul_f32 s3, s3, 0x4f7ffffe
	s_delay_alu instid0(SALU_CYCLE_3) | instskip(NEXT) | instid1(SALU_CYCLE_3)
	s_cvt_u32_f32 s3, s3
	s_mul_i32 s20, s20, s3
	s_delay_alu instid0(SALU_CYCLE_1) | instskip(NEXT) | instid1(SALU_CYCLE_1)
	s_mul_hi_u32 s20, s3, s20
	s_add_co_i32 s3, s3, s20
	s_delay_alu instid0(SALU_CYCLE_1) | instskip(NEXT) | instid1(SALU_CYCLE_1)
	s_mul_hi_u32 s3, s21, s3
	s_mul_i32 s20, s3, s2
	s_delay_alu instid0(SALU_CYCLE_1)
	s_sub_co_i32 s20, s21, s20
	s_add_co_i32 s21, s3, 1
	s_sub_co_i32 s22, s20, s2
	s_cmp_ge_u32 s20, s2
	s_cselect_b32 s3, s21, s3
	s_cselect_b32 s20, s22, s20
	s_add_co_i32 s21, s3, 1
	s_cmp_ge_u32 s20, s2
	s_cselect_b32 s28, s21, s3
	s_abs_i32 s3, s6
	s_mov_b32 s21, exec_lo
	s_cvt_f32_u32 s2, s3
	s_delay_alu instid0(SALU_CYCLE_3) | instskip(SKIP_1) | instid1(SALU_CYCLE_1)
	v_rcp_iflag_f32_e32 v1, s2
	s_mul_i32 s2, s19, s7
	s_mul_i32 s6, s2, s10
	v_nop
	s_delay_alu instid0(TRANS32_DEP_1)
	v_readfirstlane_b32 s20, v1
	v_cmpx_gt_i32_e64 s6, v0
	s_cbranch_execz .LBB16_20
; %bb.1:
	s_mul_f32 s31, s20, 0x4f7ffffe
	s_xor_b32 s33, s30, s9
	s_sub_co_i32 s34, 0, s3
	s_ashr_i32 s33, s33, 31
	s_cvt_u32_f32 s31, s31
	s_xor_b32 s28, s28, s33
	s_mov_b32 s35, s29
	s_sub_co_i32 s33, s28, s33
	s_mul_i32 s34, s34, s31
	s_abs_i32 s28, s33
	s_mul_hi_u32 s34, s31, s34
	s_load_b256 s[20:27], s[0:1], 0x0
	s_add_co_i32 s34, s31, s34
	s_mov_b32 s40, s9
	s_mul_u64 s[34:35], s[28:29], s[34:35]
	s_ashr_i32 s34, s33, 31
	s_mul_i32 s31, s35, s3
	s_mul_i32 s33, s33, s9
	s_sub_co_i32 s28, s28, s31
	s_sub_co_i32 s38, s30, s33
	;; [unrolled: 1-line block ×3, first 2 shown]
	s_cmp_ge_u32 s28, s3
	s_mul_i32 s33, s19, s8
	s_cselect_b32 s19, s30, s28
	s_mov_b32 s42, s10
	s_sub_co_i32 s28, s19, s3
	s_cmp_ge_u32 s19, s3
	s_load_b64 s[36:37], s[0:1], 0x20
	s_cselect_b32 s3, s28, s19
	s_ashr_i32 s41, s9, 31
	s_xor_b32 s3, s3, s34
	s_ashr_i32 s43, s10, 31
	s_sub_co_i32 s44, s3, s34
	s_ashr_i32 s39, s38, 31
	s_ashr_i32 s45, s44, 31
	;; [unrolled: 1-line block ×3, first 2 shown]
	s_mul_u64 s[40:41], s[44:45], s[40:41]
	s_mul_u64 s[42:43], s[2:3], s[42:43]
	s_add_nc_u64 s[40:41], s[40:41], s[38:39]
	s_wait_kmcnt 0x0
	v_cmp_neq_f64_e64 s28, s[24:25], 1.0
	v_cmp_neq_f64_e64 s39, s[26:27], 0
	s_mul_u64 s[40:41], s[42:43], s[40:41]
	s_ashr_i32 s31, s4, 31
	s_ashr_i32 s35, s5, 31
	s_ashr_i32 s50, s33, 31
	s_lshl_b64 s[40:41], s[40:41], 1
	s_cmp_lt_i32 s17, 1
	s_mul_i32 s9, s38, s11
	s_cselect_b32 s51, -1, 0
	s_sub_co_i32 s15, s9, s15
	s_cmp_gt_i32 s18, 0
	s_load_b32 s0, s[0:1], 0xec
	s_cselect_b32 s52, -1, 0
	s_cmp_gt_i32 s8, 0
	s_mov_b32 s30, s4
	s_cselect_b32 s53, -1, 0
	s_abs_i32 s54, s2
	s_wait_xcnt 0x0
	s_abs_i32 s1, s7
	s_cvt_f32_u32 s9, s54
	s_cvt_f32_u32 s10, s1
	s_mov_b32 s34, s5
	s_add_nc_u64 s[4:5], s[36:37], s[40:41]
	v_rcp_iflag_f32_e32 v1, s9
	v_rcp_iflag_f32_e32 v2, s10
	s_ashr_i32 s9, s8, 31
	s_ashr_i32 s47, s17, 31
	s_mov_b32 s46, s17
	s_mul_u64 s[42:43], s[34:35], s[30:31]
	v_mov_b32_e32 v3, 0
	v_readfirstlane_b32 s19, v1
	v_readfirstlane_b32 s36, v2
	s_wait_kmcnt 0x0
	s_and_b32 s56, s0, 0xffff
	s_or_b32 s55, s28, s39
	s_sub_co_i32 s0, 0, s54
	s_mul_f32 s37, s19, 0x4f7ffffe
	s_mul_f32 s28, s36, 0x4f7ffffe
	s_ashr_i32 s19, s18, 31
	s_mul_u64 s[42:43], s[42:43], s[44:45]
	s_cvt_u32_f32 s36, s37
	s_cvt_u32_f32 s28, s28
	s_sub_co_i32 s37, 0, s1
	s_mul_u64 s[48:49], s[18:19], s[8:9]
	s_mul_i32 s0, s0, s36
	s_mul_i32 s37, s37, s28
	s_mul_hi_u32 s0, s36, s0
	s_mul_u64 s[44:45], s[48:49], s[46:47]
	s_add_co_i32 s36, s36, s0
	s_mul_hi_u32 s0, s28, s37
	s_ashr_i32 s11, s7, 31
	s_mov_b32 s10, s7
	s_mov_b32 s37, s29
	s_add_co_i32 s38, s28, s0
	s_mov_b32 s39, s29
	s_lshl_b64 s[40:41], s[8:9], 1
	s_lshl_b64 s[42:43], s[42:43], 1
	;; [unrolled: 1-line block ×4, first 2 shown]
	s_mov_b32 s9, 0
	s_branch .LBB16_3
.LBB16_2:                               ;   in Loop: Header=BB16_3 Depth=1
	v_add_nc_u32_e32 v0, s56, v0
	s_delay_alu instid0(VALU_DEP_1)
	v_cmp_le_i32_e32 vcc_lo, s6, v0
	s_or_b32 s9, vcc_lo, s9
	s_wait_xcnt 0x0
	s_and_not1_b32 exec_lo, exec_lo, s9
	s_cbranch_execz .LBB16_20
.LBB16_3:                               ; =>This Loop Header: Depth=1
                                        ;     Child Loop BB16_8 Depth 2
                                        ;       Child Loop BB16_11 Depth 3
                                        ;         Child Loop BB16_14 Depth 4
	v_sub_nc_u32_e32 v1, 0, v0
	s_mov_b32 s0, -1
	s_delay_alu instid0(VALU_DEP_1) | instskip(NEXT) | instid1(VALU_DEP_1)
	v_max_i32_e32 v2, v0, v1
	v_mul_u64_e32 v[4:5], s[36:37], v[2:3]
	s_delay_alu instid0(VALU_DEP_1) | instskip(NEXT) | instid1(VALU_DEP_1)
	v_mul_lo_u32 v1, v5, s54
	v_sub_nc_u32_e32 v1, v2, v1
	v_add_nc_u32_e32 v2, 1, v5
	s_delay_alu instid0(VALU_DEP_2) | instskip(NEXT) | instid1(VALU_DEP_2)
	v_cmp_le_u32_e32 vcc_lo, s54, v1
	v_cndmask_b32_e32 v2, v5, v2, vcc_lo
	v_subrev_nc_u32_e32 v4, s54, v1
	v_ashrrev_i32_e32 v5, 31, v0
	s_delay_alu instid0(VALU_DEP_2) | instskip(NEXT) | instid1(VALU_DEP_1)
	v_dual_cndmask_b32 v1, v1, v4 :: v_dual_add_nc_u32 v4, 1, v2
	v_cmp_le_u32_e32 vcc_lo, s54, v1
	s_delay_alu instid0(VALU_DEP_2) | instskip(NEXT) | instid1(VALU_DEP_1)
	v_dual_cndmask_b32 v1, v2, v4, vcc_lo :: v_dual_bitop2_b32 v5, s3, v5 bitop3:0x14
	v_xor_b32_e32 v1, v1, v5
	s_delay_alu instid0(VALU_DEP_1) | instskip(NEXT) | instid1(VALU_DEP_1)
	v_sub_nc_u32_e32 v1, v1, v5
	v_mul_lo_u32 v2, v1, s2
	s_delay_alu instid0(VALU_DEP_1) | instskip(NEXT) | instid1(VALU_DEP_1)
	v_sub_nc_u32_e32 v10, v0, v2
	v_sub_nc_u32_e32 v2, 0, v10
	s_delay_alu instid0(VALU_DEP_1) | instskip(NEXT) | instid1(VALU_DEP_1)
	v_max_i32_e32 v2, v10, v2
	v_mul_u64_e32 v[4:5], s[38:39], v[2:3]
	s_delay_alu instid0(VALU_DEP_1) | instskip(NEXT) | instid1(VALU_DEP_1)
	v_mul_lo_u32 v4, v5, s1
	v_dual_sub_nc_u32 v2, v2, v4 :: v_dual_add_nc_u32 v4, 1, v5
	s_delay_alu instid0(VALU_DEP_1) | instskip(NEXT) | instid1(VALU_DEP_2)
	v_cmp_le_u32_e32 vcc_lo, s1, v2
	v_cndmask_b32_e32 v4, v5, v4, vcc_lo
	v_subrev_nc_u32_e32 v6, s1, v2
	s_delay_alu instid0(VALU_DEP_2) | instskip(NEXT) | instid1(VALU_DEP_1)
	v_dual_ashrrev_i32 v11, 31, v10 :: v_dual_add_nc_u32 v5, 1, v4
	v_dual_cndmask_b32 v2, v2, v6, vcc_lo :: v_dual_bitop2_b32 v6, s11, v11 bitop3:0x14
	s_delay_alu instid0(VALU_DEP_1) | instskip(NEXT) | instid1(VALU_DEP_3)
	v_cmp_le_u32_e32 vcc_lo, s1, v2
	v_cndmask_b32_e32 v2, v4, v5, vcc_lo
	s_and_not1_b32 vcc_lo, exec_lo, s51
	s_delay_alu instid0(VALU_DEP_1) | instskip(NEXT) | instid1(VALU_DEP_1)
	v_xor_b32_e32 v2, v2, v6
	v_sub_nc_u32_e32 v14, v2, v6
                                        ; implicit-def: $vgpr6_vgpr7
	s_delay_alu instid0(VALU_DEP_1) | instskip(NEXT) | instid1(VALU_DEP_1)
	v_mul_lo_u32 v12, v14, s7
	v_dual_ashrrev_i32 v15, 31, v14 :: v_dual_sub_nc_u32 v4, v10, v12
	s_delay_alu instid0(VALU_DEP_1)
	v_ashrrev_i32_e32 v5, 31, v4
	s_cbranch_vccnz .LBB16_5
; %bb.4:                                ;   in Loop: Header=BB16_3 Depth=1
	s_delay_alu instid0(VALU_DEP_2)
	v_mul_u64_e32 v[6:7], s[10:11], v[14:15]
	s_mov_b32 s0, 0
.LBB16_5:                               ;   in Loop: Header=BB16_3 Depth=1
	v_mov_b64_e32 v[8:9], 0
	s_and_not1_b32 vcc_lo, exec_lo, s0
	s_cbranch_vccnz .LBB16_16
; %bb.6:                                ;   in Loop: Header=BB16_3 Depth=1
	v_mul_u64_e32 v[6:7], s[10:11], v[14:15]
	v_ashrrev_i32_e32 v13, 31, v12
	s_mov_b32 s19, 0
	s_mov_b32 s28, s15
	s_delay_alu instid0(VALU_DEP_2) | instskip(SKIP_1) | instid1(VALU_DEP_2)
	v_add_nc_u64_e32 v[8:9], v[6:7], v[10:11]
	v_mad_nc_u64_u32 v[10:11], s40, v14, s[20:21]
	v_sub_nc_u64_e32 v[8:9], v[8:9], v[12:13]
	s_delay_alu instid0(VALU_DEP_2) | instskip(SKIP_1) | instid1(VALU_DEP_3)
	v_mad_u32 v2, s41, v14, v11
	v_mul_lo_u32 v14, v1, s12
	v_mad_nc_u64_u32 v[12:13], s44, v8, s[22:23]
	s_delay_alu instid0(VALU_DEP_3) | instskip(NEXT) | instid1(VALU_DEP_3)
	v_mad_u32 v11, s40, v15, v2
	v_subrev_nc_u32_e32 v20, s16, v14
	s_delay_alu instid0(VALU_DEP_3) | instskip(NEXT) | instid1(VALU_DEP_1)
	v_mad_u32 v8, s45, v8, v13
	v_mad_u32 v13, s44, v9, v8
	v_mov_b64_e32 v[8:9], 0
	s_branch .LBB16_8
.LBB16_7:                               ;   in Loop: Header=BB16_8 Depth=2
	s_delay_alu instid0(VALU_DEP_1)
	v_add_nc_u64_e32 v[12:13], s[46:47], v[12:13]
	s_add_co_i32 s19, s19, 1
	s_add_co_i32 s28, s28, s13
	s_cmp_eq_u32 s19, s17
	s_cbranch_scc1 .LBB16_16
.LBB16_8:                               ;   Parent Loop BB16_3 Depth=1
                                        ; =>  This Loop Header: Depth=2
                                        ;       Child Loop BB16_11 Depth 3
                                        ;         Child Loop BB16_14 Depth 4
	s_and_not1_b32 vcc_lo, exec_lo, s52
	s_cbranch_vccnz .LBB16_7
; %bb.9:                                ;   in Loop: Header=BB16_8 Depth=2
	s_mul_i32 s0, s19, s13
	s_delay_alu instid0(VALU_DEP_1)
	v_mov_b64_e32 v[14:15], v[12:13]
	s_add_co_i32 s0, s0, s15
	v_mov_b32_e32 v2, v20
	s_cmp_lt_i32 s0, 0
	s_mul_u64 s[48:49], s[34:35], s[28:29]
	s_cselect_b32 s57, -1, 0
	s_cmp_ge_i32 s0, s30
	s_mov_b32 s31, 0
	s_cselect_b32 s0, -1, 0
	s_delay_alu instid0(SALU_CYCLE_1)
	s_or_b32 s57, s57, s0
	s_branch .LBB16_11
.LBB16_10:                              ;   in Loop: Header=BB16_11 Depth=3
	v_add_nc_u64_e32 v[14:15], s[40:41], v[14:15]
	v_add_nc_u32_e32 v2, s14, v2
	s_add_co_i32 s31, s31, 1
	s_delay_alu instid0(SALU_CYCLE_1)
	s_cmp_eq_u32 s31, s18
	s_cbranch_scc1 .LBB16_7
.LBB16_11:                              ;   Parent Loop BB16_3 Depth=1
                                        ;     Parent Loop BB16_8 Depth=2
                                        ; =>    This Loop Header: Depth=3
                                        ;         Child Loop BB16_14 Depth 4
	s_and_not1_b32 vcc_lo, exec_lo, s53
	s_cbranch_vccnz .LBB16_10
; %bb.12:                               ;   in Loop: Header=BB16_11 Depth=3
	v_add_nc_u64_e32 v[16:17], s[48:49], v[2:3]
	v_mad_u32 v21, s31, s14, v20
	s_mov_b32 s58, s8
	s_delay_alu instid0(VALU_DEP_2) | instskip(NEXT) | instid1(VALU_DEP_2)
	v_lshl_add_u64 v[18:19], v[16:17], 1, s[42:43]
	v_cmp_gt_i32_e32 vcc_lo, 0, v21
	s_delay_alu instid0(VALU_DEP_2) | instskip(SKIP_2) | instid1(SALU_CYCLE_1)
	v_mad_nc_u64_u32 v[16:17], s33, v18, v[10:11]
	v_cmp_le_i32_e64 s0, s34, v21
	s_or_b32 s0, vcc_lo, s0
	s_nor_b32 s0, s57, s0
	v_mad_u32 v17, s50, v18, v17
	s_delay_alu instid0(VALU_DEP_1)
	v_mad_u32 v17, s33, v19, v17
	v_mov_b64_e32 v[18:19], v[14:15]
	s_branch .LBB16_14
.LBB16_13:                              ;   in Loop: Header=BB16_14 Depth=4
	s_wait_xcnt 0x0
	s_or_b32 exec_lo, exec_lo, s59
	s_delay_alu instid0(VALU_DEP_2) | instskip(SKIP_2) | instid1(SALU_CYCLE_1)
	v_add_nc_u64_e32 v[16:17], 2, v[16:17]
	v_add_nc_u64_e32 v[18:19], 2, v[18:19]
	s_add_co_i32 s58, s58, -1
	s_cmp_eq_u32 s58, 0
	s_cbranch_scc1 .LBB16_10
.LBB16_14:                              ;   Parent Loop BB16_3 Depth=1
                                        ;     Parent Loop BB16_8 Depth=2
                                        ;       Parent Loop BB16_11 Depth=3
                                        ; =>      This Inner Loop Header: Depth=4
	s_and_saveexec_b32 s59, s0
	s_cbranch_execz .LBB16_13
; %bb.15:                               ;   in Loop: Header=BB16_14 Depth=4
	global_load_u16 v21, v[18:19], off
	global_load_u16 v22, v[16:17], off
	s_wait_loadcnt 0x0
	v_dual_lshlrev_b32 v21, 16, v21 :: v_dual_lshlrev_b32 v24, 16, v22
	s_delay_alu instid0(VALU_DEP_1) | instskip(NEXT) | instid1(VALU_DEP_2)
	v_cvt_f64_f32_e32 v[22:23], v21
	v_cvt_f64_f32_e32 v[24:25], v24
	s_delay_alu instid0(VALU_DEP_1)
	v_fmac_f64_e32 v[8:9], v[24:25], v[22:23]
	s_branch .LBB16_13
.LBB16_16:                              ;   in Loop: Header=BB16_3 Depth=1
	v_mad_nc_i64_i32 v[4:5], v1, s2, v[4:5]
	s_and_b32 vcc_lo, exec_lo, s55
	s_mov_b32 s0, -1
	s_delay_alu instid0(VALU_DEP_1) | instskip(NEXT) | instid1(VALU_DEP_1)
	v_add_nc_u64_e32 v[4:5], v[4:5], v[6:7]
	v_lshl_add_u64 v[4:5], v[4:5], 1, s[4:5]
	s_cbranch_vccz .LBB16_18
; %bb.17:                               ;   in Loop: Header=BB16_3 Depth=1
	global_load_u16 v1, v[4:5], off
	s_wait_loadcnt 0x0
	v_lshlrev_b32_e32 v1, 16, v1
	s_delay_alu instid0(VALU_DEP_1) | instskip(NEXT) | instid1(VALU_DEP_1)
	v_cvt_f64_f32_e32 v[6:7], v1
	v_mul_f64_e32 v[6:7], s[26:27], v[6:7]
	s_delay_alu instid0(VALU_DEP_1) | instskip(NEXT) | instid1(VALU_DEP_1)
	v_fmac_f64_e32 v[6:7], s[24:25], v[8:9]
	v_cvt_f32_f64_e32 v1, v[6:7]
	s_delay_alu instid0(VALU_DEP_1) | instskip(SKIP_2) | instid1(VALU_DEP_3)
	v_and_b32_e32 v2, 0x7f800000, v1
	v_and_b32_e32 v6, 0xffff, v1
	v_lshrrev_b32_e32 v1, 16, v1
	v_cmp_eq_u32_e32 vcc_lo, 0x7f800000, v2
	s_delay_alu instid0(VALU_DEP_3) | instskip(SKIP_1) | instid1(SALU_CYCLE_1)
	v_cmp_ne_u32_e64 s0, 0, v6
	s_and_b32 s0, vcc_lo, s0
	v_cndmask_b32_e64 v2, 0, 1, s0
	s_mov_b32 s0, 0
	s_delay_alu instid0(VALU_DEP_1)
	v_or_b32_e32 v1, v1, v2
	global_store_b16 v[4:5], v1, off
.LBB16_18:                              ;   in Loop: Header=BB16_3 Depth=1
	s_and_not1_b32 vcc_lo, exec_lo, s0
	s_cbranch_vccnz .LBB16_2
; %bb.19:                               ;   in Loop: Header=BB16_3 Depth=1
	s_wait_xcnt 0x0
	v_cvt_f32_f64_e32 v1, v[8:9]
	s_delay_alu instid0(VALU_DEP_1) | instskip(SKIP_2) | instid1(VALU_DEP_3)
	v_and_b32_e32 v2, 0x7f800000, v1
	v_and_b32_e32 v6, 0xffff, v1
	v_lshrrev_b32_e32 v1, 16, v1
	v_cmp_eq_u32_e32 vcc_lo, 0x7f800000, v2
	s_delay_alu instid0(VALU_DEP_3) | instskip(SKIP_1) | instid1(SALU_CYCLE_1)
	v_cmp_ne_u32_e64 s0, 0, v6
	s_and_b32 s0, vcc_lo, s0
	v_cndmask_b32_e64 v2, 0, 1, s0
	s_delay_alu instid0(VALU_DEP_1)
	v_or_b32_e32 v1, v1, v2
	global_store_b16 v[4:5], v1, off
	s_branch .LBB16_2
.LBB16_20:
	s_endpgm
	.section	.rodata,"a",@progbits
	.p2align	6, 0x0
	.amdhsa_kernel naive_conv_ab_packed_fwd_nhwc_ushort_double_ushort
		.amdhsa_group_segment_fixed_size 0
		.amdhsa_private_segment_fixed_size 0
		.amdhsa_kernarg_size 480
		.amdhsa_user_sgpr_count 2
		.amdhsa_user_sgpr_dispatch_ptr 0
		.amdhsa_user_sgpr_queue_ptr 0
		.amdhsa_user_sgpr_kernarg_segment_ptr 1
		.amdhsa_user_sgpr_dispatch_id 0
		.amdhsa_user_sgpr_kernarg_preload_length 0
		.amdhsa_user_sgpr_kernarg_preload_offset 0
		.amdhsa_user_sgpr_private_segment_size 0
		.amdhsa_wavefront_size32 1
		.amdhsa_uses_dynamic_stack 0
		.amdhsa_enable_private_segment 0
		.amdhsa_system_sgpr_workgroup_id_x 1
		.amdhsa_system_sgpr_workgroup_id_y 0
		.amdhsa_system_sgpr_workgroup_id_z 0
		.amdhsa_system_sgpr_workgroup_info 0
		.amdhsa_system_vgpr_workitem_id 0
		.amdhsa_next_free_vgpr 26
		.amdhsa_next_free_sgpr 60
		.amdhsa_named_barrier_count 0
		.amdhsa_reserve_vcc 1
		.amdhsa_float_round_mode_32 0
		.amdhsa_float_round_mode_16_64 0
		.amdhsa_float_denorm_mode_32 3
		.amdhsa_float_denorm_mode_16_64 3
		.amdhsa_fp16_overflow 0
		.amdhsa_memory_ordered 1
		.amdhsa_forward_progress 1
		.amdhsa_inst_pref_size 14
		.amdhsa_round_robin_scheduling 0
		.amdhsa_exception_fp_ieee_invalid_op 0
		.amdhsa_exception_fp_denorm_src 0
		.amdhsa_exception_fp_ieee_div_zero 0
		.amdhsa_exception_fp_ieee_overflow 0
		.amdhsa_exception_fp_ieee_underflow 0
		.amdhsa_exception_fp_ieee_inexact 0
		.amdhsa_exception_int_div_zero 0
	.end_amdhsa_kernel
	.text
.Lfunc_end16:
	.size	naive_conv_ab_packed_fwd_nhwc_ushort_double_ushort, .Lfunc_end16-naive_conv_ab_packed_fwd_nhwc_ushort_double_ushort
                                        ; -- End function
	.set naive_conv_ab_packed_fwd_nhwc_ushort_double_ushort.num_vgpr, 26
	.set naive_conv_ab_packed_fwd_nhwc_ushort_double_ushort.num_agpr, 0
	.set naive_conv_ab_packed_fwd_nhwc_ushort_double_ushort.numbered_sgpr, 60
	.set naive_conv_ab_packed_fwd_nhwc_ushort_double_ushort.num_named_barrier, 0
	.set naive_conv_ab_packed_fwd_nhwc_ushort_double_ushort.private_seg_size, 0
	.set naive_conv_ab_packed_fwd_nhwc_ushort_double_ushort.uses_vcc, 1
	.set naive_conv_ab_packed_fwd_nhwc_ushort_double_ushort.uses_flat_scratch, 0
	.set naive_conv_ab_packed_fwd_nhwc_ushort_double_ushort.has_dyn_sized_stack, 0
	.set naive_conv_ab_packed_fwd_nhwc_ushort_double_ushort.has_recursion, 0
	.set naive_conv_ab_packed_fwd_nhwc_ushort_double_ushort.has_indirect_call, 0
	.section	.AMDGPU.csdata,"",@progbits
; Kernel info:
; codeLenInByte = 1668
; TotalNumSgprs: 62
; NumVgprs: 26
; ScratchSize: 0
; MemoryBound: 0
; FloatMode: 240
; IeeeMode: 1
; LDSByteSize: 0 bytes/workgroup (compile time only)
; SGPRBlocks: 0
; VGPRBlocks: 1
; NumSGPRsForWavesPerEU: 62
; NumVGPRsForWavesPerEU: 26
; NamedBarCnt: 0
; Occupancy: 16
; WaveLimiterHint : 0
; COMPUTE_PGM_RSRC2:SCRATCH_EN: 0
; COMPUTE_PGM_RSRC2:USER_SGPR: 2
; COMPUTE_PGM_RSRC2:TRAP_HANDLER: 0
; COMPUTE_PGM_RSRC2:TGID_X_EN: 1
; COMPUTE_PGM_RSRC2:TGID_Y_EN: 0
; COMPUTE_PGM_RSRC2:TGID_Z_EN: 0
; COMPUTE_PGM_RSRC2:TIDIG_COMP_CNT: 0
	.text
	.protected	naive_conv_ab_nonpacked_fwd_nhwc_ushort_double_ushort ; -- Begin function naive_conv_ab_nonpacked_fwd_nhwc_ushort_double_ushort
	.globl	naive_conv_ab_nonpacked_fwd_nhwc_ushort_double_ushort
	.p2align	8
	.type	naive_conv_ab_nonpacked_fwd_nhwc_ushort_double_ushort,@function
naive_conv_ab_nonpacked_fwd_nhwc_ushort_double_ushort: ; @naive_conv_ab_nonpacked_fwd_nhwc_ushort_double_ushort
; %bb.0:
	s_load_b512 s[4:19], s[0:1], 0xa0
	s_bfe_u32 s2, ttmp6, 0x4000c
	s_and_b32 s3, ttmp6, 15
	s_add_co_i32 s2, s2, 1
	s_getreg_b32 s20, hwreg(HW_REG_IB_STS2, 6, 4)
	s_mul_i32 s2, ttmp9, s2
	s_delay_alu instid0(SALU_CYCLE_1) | instskip(SKIP_2) | instid1(SALU_CYCLE_1)
	s_add_co_i32 s3, s3, s2
	s_cmp_eq_u32 s20, 0
	s_cselect_b32 s33, ttmp9, s3
	s_abs_i32 s21, s33
	s_wait_kmcnt 0x0
	s_abs_i32 s2, s9
	s_delay_alu instid0(SALU_CYCLE_1) | instskip(SKIP_1) | instid1(SALU_CYCLE_2)
	s_cvt_f32_u32 s3, s2
	s_sub_co_i32 s20, 0, s2
	v_rcp_iflag_f32_e32 v1, s3
	v_nop
	s_delay_alu instid0(TRANS32_DEP_1) | instskip(SKIP_1) | instid1(SALU_CYCLE_3)
	v_readfirstlane_b32 s3, v1
	s_mul_f32 s3, s3, 0x4f7ffffe
	s_cvt_u32_f32 s3, s3
	s_delay_alu instid0(SALU_CYCLE_3) | instskip(NEXT) | instid1(SALU_CYCLE_1)
	s_mul_i32 s20, s20, s3
	s_mul_hi_u32 s20, s3, s20
	s_delay_alu instid0(SALU_CYCLE_1) | instskip(NEXT) | instid1(SALU_CYCLE_1)
	s_add_co_i32 s3, s3, s20
	s_mul_hi_u32 s3, s21, s3
	s_delay_alu instid0(SALU_CYCLE_1) | instskip(NEXT) | instid1(SALU_CYCLE_1)
	s_mul_i32 s20, s3, s2
	s_sub_co_i32 s20, s21, s20
	s_add_co_i32 s21, s3, 1
	s_sub_co_i32 s22, s20, s2
	s_cmp_ge_u32 s20, s2
	s_cselect_b32 s3, s21, s3
	s_cselect_b32 s20, s22, s20
	s_add_co_i32 s21, s3, 1
	s_cmp_ge_u32 s20, s2
	s_mov_b32 s20, exec_lo
	s_cselect_b32 s2, s21, s3
	s_abs_i32 s34, s6
	s_mul_i32 s6, s19, s7
	s_cvt_f32_u32 s3, s34
	s_mul_i32 s19, s6, s10
	s_delay_alu instid0(SALU_CYCLE_2) | instskip(SKIP_2) | instid1(TRANS32_DEP_1)
	v_rcp_iflag_f32_e32 v1, s3
	s_mov_b32 s3, 0
	v_nop
	v_readfirstlane_b32 s10, v1
	v_cmpx_gt_i32_e64 s19, v0
	s_cbranch_execz .LBB17_20
; %bb.1:
	s_mul_f32 s10, s10, 0x4f7ffffe
	s_xor_b32 s28, s33, s9
	s_sub_co_i32 s30, 0, s34
	s_ashr_i32 s28, s28, 31
	s_cvt_u32_f32 s10, s10
	s_xor_b32 s2, s2, s28
	s_mov_b32 s29, s3
	s_sub_co_i32 s35, s2, s28
	s_mul_i32 s30, s30, s10
	s_abs_i32 s2, s35
	s_mul_hi_u32 s28, s10, s30
	s_ashr_i32 s40, s35, 31
	s_add_co_i32 s28, s10, s28
	s_mul_i32 s35, s35, s9
	s_mul_u64 s[36:37], s[2:3], s[28:29]
	s_clause 0x1
	s_load_b64 s[38:39], s[0:1], 0x98
	s_load_b128 s[28:31], s[0:1], 0x88
	s_mul_i32 s10, s37, s34
	s_load_b256 s[20:27], s[0:1], 0x0
	s_sub_co_i32 s2, s2, s10
	s_sub_co_i32 s10, s33, s35
	;; [unrolled: 1-line block ×3, first 2 shown]
	s_cmp_ge_u32 s2, s34
	s_mul_i32 s33, s10, s11
	s_cselect_b32 s2, s9, s2
	s_load_b256 s[52:59], s[0:1], 0x68
	s_sub_co_i32 s9, s2, s34
	s_cmp_ge_u32 s2, s34
	s_load_b64 s[34:35], s[0:1], 0x20
	s_cselect_b32 s2, s9, s2
	s_ashr_i32 s11, s10, 31
	s_xor_b32 s2, s2, s40
	s_load_b32 s63, s[0:1], 0xec
	s_sub_co_i32 s66, s2, s40
	v_mov_b32_e32 v3, 0
	s_ashr_i32 s67, s66, 31
	s_wait_kmcnt 0x0
	s_mul_u64 s[10:11], s[30:31], s[10:11]
	s_mul_u64 s[30:31], s[38:39], s[66:67]
	s_lshl_b64 s[64:65], s[10:11], 1
	s_lshl_b64 s[10:11], s[30:31], 1
	s_cmp_lt_i32 s17, 1
	v_cmp_neq_f64_e64 s68, s[24:25], 1.0
	s_cselect_b32 s9, -1, 0
	s_sub_co_i32 s15, s33, s15
	v_cmp_neq_f64_e64 s2, s[26:27], 0
	s_cmp_gt_i32 s18, 0
	s_load_b512 s[36:51], s[0:1], 0x28
	s_cselect_b32 s33, -1, 0
	s_cmp_gt_i32 s8, 0
	s_wait_xcnt 0x0
	s_add_nc_u64 s[0:1], s[34:35], s[10:11]
	s_cselect_b32 s60, -1, 0
	s_abs_i32 s61, s6
	s_abs_i32 s62, s7
	s_cvt_f32_u32 s30, s61
	s_cvt_f32_u32 s31, s62
	s_lshl_b64 s[34:35], s[52:53], 1
	s_sub_co_i32 s52, 0, s61
	v_rcp_iflag_f32_e32 v1, s30
	v_rcp_iflag_f32_e32 v2, s31
	s_add_nc_u64 s[30:31], s[0:1], s[64:65]
	s_sub_co_i32 s53, 0, s62
	s_mov_b32 s11, s3
	s_and_b32 s1, s63, 0xffff
	s_ashr_i32 s63, s6, 31
	v_readfirstlane_b32 s0, v1
	v_readfirstlane_b32 s10, v2
	s_ashr_i32 s64, s7, 31
	s_wait_kmcnt 0x0
	s_lshl_b64 s[50:51], s[50:51], 1
	s_lshl_b64 s[46:47], s[46:47], 1
	s_mul_f32 s0, s0, 0x4f7ffffe
	s_mul_f32 s10, s10, 0x4f7ffffe
	s_lshl_b64 s[38:39], s[38:39], 1
	s_lshl_b64 s[42:43], s[42:43], 1
	s_cvt_u32_f32 s0, s0
	s_cvt_u32_f32 s10, s10
	s_lshl_b64 s[40:41], s[40:41], 1
	s_or_b32 s65, s68, s2
	s_mul_i32 s52, s52, s0
	s_mul_i32 s53, s53, s10
	s_mul_hi_u32 s2, s0, s52
	s_mul_hi_u32 s52, s10, s53
	s_add_co_i32 s2, s0, s2
	s_add_co_i32 s10, s10, s52
	s_lshl_b64 s[52:53], s[54:55], 1
	s_mul_u64 s[54:55], s[44:45], s[66:67]
	s_lshl_b64 s[44:45], s[48:49], 1
	s_lshl_b64 s[48:49], s[54:55], 1
	;; [unrolled: 1-line block ×3, first 2 shown]
	s_add_nc_u64 s[20:21], s[20:21], s[48:49]
	s_mov_b32 s48, s3
	s_branch .LBB17_3
.LBB17_2:                               ;   in Loop: Header=BB17_3 Depth=1
	v_add_nc_u32_e32 v0, s1, v0
	s_delay_alu instid0(VALU_DEP_1)
	v_cmp_le_i32_e32 vcc_lo, s19, v0
	s_or_b32 s48, vcc_lo, s48
	s_wait_xcnt 0x0
	s_and_not1_b32 exec_lo, exec_lo, s48
	s_cbranch_execz .LBB17_20
.LBB17_3:                               ; =>This Loop Header: Depth=1
                                        ;     Child Loop BB17_8 Depth 2
                                        ;       Child Loop BB17_11 Depth 3
                                        ;         Child Loop BB17_14 Depth 4
	v_sub_nc_u32_e32 v1, 0, v0
	s_mov_b32 s0, -1
	s_delay_alu instid0(VALU_DEP_1) | instskip(NEXT) | instid1(VALU_DEP_1)
	v_max_i32_e32 v2, v0, v1
	v_mul_u64_e32 v[4:5], s[2:3], v[2:3]
	s_delay_alu instid0(VALU_DEP_1) | instskip(NEXT) | instid1(VALU_DEP_1)
	v_mul_lo_u32 v1, v5, s61
	v_sub_nc_u32_e32 v1, v2, v1
	v_add_nc_u32_e32 v2, 1, v5
	s_delay_alu instid0(VALU_DEP_2) | instskip(NEXT) | instid1(VALU_DEP_2)
	v_cmp_le_u32_e32 vcc_lo, s61, v1
	v_cndmask_b32_e32 v2, v5, v2, vcc_lo
	v_subrev_nc_u32_e32 v4, s61, v1
	v_ashrrev_i32_e32 v5, 31, v0
	s_delay_alu instid0(VALU_DEP_2) | instskip(NEXT) | instid1(VALU_DEP_1)
	v_dual_cndmask_b32 v1, v1, v4 :: v_dual_add_nc_u32 v4, 1, v2
	v_cmp_le_u32_e32 vcc_lo, s61, v1
	s_delay_alu instid0(VALU_DEP_2) | instskip(NEXT) | instid1(VALU_DEP_1)
	v_dual_cndmask_b32 v1, v2, v4, vcc_lo :: v_dual_bitop2_b32 v5, s63, v5 bitop3:0x14
	v_xor_b32_e32 v1, v1, v5
	s_delay_alu instid0(VALU_DEP_1) | instskip(NEXT) | instid1(VALU_DEP_1)
	v_sub_nc_u32_e32 v4, v1, v5
	v_mul_lo_u32 v1, v4, s6
	s_delay_alu instid0(VALU_DEP_1) | instskip(NEXT) | instid1(VALU_DEP_1)
	v_sub_nc_u32_e32 v10, v0, v1
	v_sub_nc_u32_e32 v1, 0, v10
	s_delay_alu instid0(VALU_DEP_1) | instskip(NEXT) | instid1(VALU_DEP_1)
	v_max_i32_e32 v2, v10, v1
	v_mul_u64_e32 v[6:7], s[10:11], v[2:3]
	s_delay_alu instid0(VALU_DEP_1) | instskip(NEXT) | instid1(VALU_DEP_1)
	v_mul_lo_u32 v1, v7, s62
	v_dual_sub_nc_u32 v1, v2, v1 :: v_dual_add_nc_u32 v2, 1, v7
	v_ashrrev_i32_e32 v11, 31, v10
	s_delay_alu instid0(VALU_DEP_2) | instskip(SKIP_1) | instid1(VALU_DEP_3)
	v_subrev_nc_u32_e32 v5, s62, v1
	v_cmp_le_u32_e32 vcc_lo, s62, v1
	v_dual_cndmask_b32 v2, v7, v2, vcc_lo :: v_dual_bitop2_b32 v6, s64, v11 bitop3:0x14
	s_delay_alu instid0(VALU_DEP_1) | instskip(NEXT) | instid1(VALU_DEP_1)
	v_dual_cndmask_b32 v1, v1, v5, vcc_lo :: v_dual_add_nc_u32 v5, 1, v2
	v_cmp_le_u32_e32 vcc_lo, s62, v1
	s_delay_alu instid0(VALU_DEP_2) | instskip(SKIP_1) | instid1(VALU_DEP_1)
	v_cndmask_b32_e32 v1, v2, v5, vcc_lo
	s_and_not1_b32 vcc_lo, exec_lo, s9
	v_xor_b32_e32 v1, v1, v6
	s_delay_alu instid0(VALU_DEP_1) | instskip(NEXT) | instid1(VALU_DEP_1)
	v_sub_nc_u32_e32 v6, v1, v6
	v_mul_lo_u32 v12, v6, s7
	s_delay_alu instid0(VALU_DEP_1) | instskip(NEXT) | instid1(VALU_DEP_1)
	v_dual_ashrrev_i32 v7, 31, v6 :: v_dual_sub_nc_u32 v2, v10, v12
	v_ashrrev_i32_e32 v1, 31, v2
	s_cbranch_vccnz .LBB17_5
; %bb.4:                                ;   in Loop: Header=BB17_3 Depth=1
	s_mov_b32 s0, 0
.LBB17_5:                               ;   in Loop: Header=BB17_3 Depth=1
	v_mov_b64_e32 v[8:9], 0
	s_and_not1_b32 vcc_lo, exec_lo, s0
	s_cbranch_vccnz .LBB17_16
; %bb.6:                                ;   in Loop: Header=BB17_3 Depth=1
	v_mul_u64_e32 v[8:9], s[52:53], v[6:7]
	v_ashrrev_i32_e32 v13, 31, v12
	s_mov_b32 s49, 0
	s_mov_b32 s54, s15
	s_delay_alu instid0(VALU_DEP_1) | instskip(SKIP_1) | instid1(VALU_DEP_1)
	v_sub_nc_u64_e32 v[12:13], v[10:11], v[12:13]
	v_mad_nc_u64_u32 v[10:11], s38, v6, s[20:21]
	v_mad_u32 v11, s39, v6, v11
	s_delay_alu instid0(VALU_DEP_1) | instskip(NEXT) | instid1(VALU_DEP_4)
	v_mad_u32 v11, s38, v7, v11
	v_mad_nc_u64_u32 v[8:9], s34, v12, v[8:9]
	s_delay_alu instid0(VALU_DEP_1) | instskip(NEXT) | instid1(VALU_DEP_1)
	v_mad_u32 v5, s35, v12, v9
	v_mad_u32 v9, s34, v13, v5
	v_mul_lo_u32 v5, v4, s12
	s_delay_alu instid0(VALU_DEP_2) | instskip(SKIP_1) | instid1(VALU_DEP_3)
	v_add_nc_u64_e32 v[12:13], s[22:23], v[8:9]
	v_mov_b64_e32 v[8:9], 0
	v_subrev_nc_u32_e32 v5, s16, v5
	s_branch .LBB17_8
.LBB17_7:                               ;   in Loop: Header=BB17_8 Depth=2
	s_delay_alu instid0(VALU_DEP_1)
	v_add_nc_u64_e32 v[12:13], s[50:51], v[12:13]
	s_add_co_i32 s49, s49, 1
	s_add_co_i32 s54, s54, s13
	s_cmp_eq_u32 s49, s17
	s_cbranch_scc1 .LBB17_16
.LBB17_8:                               ;   Parent Loop BB17_3 Depth=1
                                        ; =>  This Loop Header: Depth=2
                                        ;       Child Loop BB17_11 Depth 3
                                        ;         Child Loop BB17_14 Depth 4
	s_and_not1_b32 vcc_lo, exec_lo, s33
	s_cbranch_vccnz .LBB17_7
; %bb.9:                                ;   in Loop: Header=BB17_8 Depth=2
	v_mad_nc_u64_u32 v[14:15], s42, s54, v[10:11]
	s_mul_i32 s0, s49, s13
	v_mov_b64_e32 v[16:17], v[12:13]
	s_add_co_i32 s0, s0, s15
	v_mov_b32_e32 v22, v5
	s_cmp_lt_i32 s0, 0
	s_mov_b32 s55, 0
	s_cselect_b32 s66, -1, 0
	s_cmp_ge_i32 s0, s4
	s_cselect_b32 s0, -1, 0
	s_delay_alu instid0(VALU_DEP_3)
	v_mad_u32 v15, s43, s54, v15
	s_or_b32 s66, s66, s0
	s_branch .LBB17_11
.LBB17_10:                              ;   in Loop: Header=BB17_11 Depth=3
	v_add_nc_u64_e32 v[16:17], s[44:45], v[16:17]
	v_add_nc_u32_e32 v22, s14, v22
	s_add_co_i32 s55, s55, 1
	s_delay_alu instid0(SALU_CYCLE_1)
	s_cmp_eq_u32 s55, s18
	s_cbranch_scc1 .LBB17_7
.LBB17_11:                              ;   Parent Loop BB17_3 Depth=1
                                        ;     Parent Loop BB17_8 Depth=2
                                        ; =>    This Loop Header: Depth=3
                                        ;         Child Loop BB17_14 Depth 4
	s_and_not1_b32 vcc_lo, exec_lo, s60
	s_cbranch_vccnz .LBB17_10
; %bb.12:                               ;   in Loop: Header=BB17_11 Depth=3
	s_delay_alu instid0(VALU_DEP_1) | instskip(SKIP_2) | instid1(VALU_DEP_2)
	v_mad_nc_u64_u32 v[18:19], s40, v22, v[14:15]
	v_mad_u32 v20, s55, s14, v5
	s_mov_b32 s67, s8
	v_mad_u32 v19, s41, v22, v19
	s_delay_alu instid0(VALU_DEP_2) | instskip(SKIP_3) | instid1(SALU_CYCLE_1)
	v_cmp_gt_i32_e32 vcc_lo, 0, v20
	v_cmp_le_i32_e64 s0, s5, v20
	v_mov_b64_e32 v[20:21], v[16:17]
	s_or_b32 s0, vcc_lo, s0
	s_nor_b32 s0, s66, s0
	s_branch .LBB17_14
.LBB17_13:                              ;   in Loop: Header=BB17_14 Depth=4
	s_wait_xcnt 0x0
	s_or_b32 exec_lo, exec_lo, s68
	v_add_nc_u64_e32 v[20:21], s[46:47], v[20:21]
	v_add_nc_u64_e32 v[18:19], s[36:37], v[18:19]
	s_add_co_i32 s67, s67, -1
	s_delay_alu instid0(SALU_CYCLE_1)
	s_cmp_eq_u32 s67, 0
	s_cbranch_scc1 .LBB17_10
.LBB17_14:                              ;   Parent Loop BB17_3 Depth=1
                                        ;     Parent Loop BB17_8 Depth=2
                                        ;       Parent Loop BB17_11 Depth=3
                                        ; =>      This Inner Loop Header: Depth=4
	s_and_saveexec_b32 s68, s0
	s_cbranch_execz .LBB17_13
; %bb.15:                               ;   in Loop: Header=BB17_14 Depth=4
	global_load_u16 v23, v[20:21], off
	global_load_u16 v24, v[18:19], off
	s_wait_loadcnt 0x0
	v_dual_lshlrev_b32 v23, 16, v23 :: v_dual_lshlrev_b32 v26, 16, v24
	s_delay_alu instid0(VALU_DEP_1) | instskip(NEXT) | instid1(VALU_DEP_2)
	v_cvt_f64_f32_e32 v[24:25], v23
	v_cvt_f64_f32_e32 v[26:27], v26
	s_delay_alu instid0(VALU_DEP_1)
	v_fmac_f64_e32 v[8:9], v[26:27], v[24:25]
	s_branch .LBB17_13
.LBB17_16:                              ;   in Loop: Header=BB17_3 Depth=1
	v_ashrrev_i32_e32 v5, 31, v4
	s_and_b32 vcc_lo, exec_lo, s65
	s_mov_b32 s0, -1
	s_delay_alu instid0(VALU_DEP_1) | instskip(NEXT) | instid1(VALU_DEP_1)
	v_mul_u64_e32 v[4:5], s[28:29], v[4:5]
	v_mad_nc_u64_u32 v[4:5], v2, s56, v[4:5]
	s_delay_alu instid0(VALU_DEP_1) | instskip(NEXT) | instid1(VALU_DEP_1)
	v_mad_u32 v1, v1, s56, v5
	v_mad_u32 v5, v2, s57, v1
	s_delay_alu instid0(VALU_DEP_1) | instskip(NEXT) | instid1(VALU_DEP_1)
	v_mad_nc_u64_u32 v[4:5], v6, s58, v[4:5]
	v_mad_u32 v1, v7, s58, v5
	s_delay_alu instid0(VALU_DEP_1) | instskip(NEXT) | instid1(VALU_DEP_1)
	v_mad_u32 v5, v6, s59, v1
	v_lshl_add_u64 v[4:5], v[4:5], 1, s[30:31]
	s_cbranch_vccz .LBB17_18
; %bb.17:                               ;   in Loop: Header=BB17_3 Depth=1
	global_load_u16 v1, v[4:5], off
	s_wait_loadcnt 0x0
	v_lshlrev_b32_e32 v1, 16, v1
	s_delay_alu instid0(VALU_DEP_1) | instskip(NEXT) | instid1(VALU_DEP_1)
	v_cvt_f64_f32_e32 v[6:7], v1
	v_mul_f64_e32 v[6:7], s[26:27], v[6:7]
	s_delay_alu instid0(VALU_DEP_1) | instskip(NEXT) | instid1(VALU_DEP_1)
	v_fmac_f64_e32 v[6:7], s[24:25], v[8:9]
	v_cvt_f32_f64_e32 v1, v[6:7]
	s_delay_alu instid0(VALU_DEP_1) | instskip(SKIP_2) | instid1(VALU_DEP_3)
	v_and_b32_e32 v2, 0x7f800000, v1
	v_and_b32_e32 v6, 0xffff, v1
	v_lshrrev_b32_e32 v1, 16, v1
	v_cmp_eq_u32_e32 vcc_lo, 0x7f800000, v2
	s_delay_alu instid0(VALU_DEP_3) | instskip(SKIP_1) | instid1(SALU_CYCLE_1)
	v_cmp_ne_u32_e64 s0, 0, v6
	s_and_b32 s0, vcc_lo, s0
	v_cndmask_b32_e64 v2, 0, 1, s0
	s_mov_b32 s0, 0
	s_delay_alu instid0(VALU_DEP_1)
	v_or_b32_e32 v1, v1, v2
	global_store_b16 v[4:5], v1, off
.LBB17_18:                              ;   in Loop: Header=BB17_3 Depth=1
	s_and_not1_b32 vcc_lo, exec_lo, s0
	s_cbranch_vccnz .LBB17_2
; %bb.19:                               ;   in Loop: Header=BB17_3 Depth=1
	s_wait_xcnt 0x0
	v_cvt_f32_f64_e32 v1, v[8:9]
	s_delay_alu instid0(VALU_DEP_1) | instskip(SKIP_2) | instid1(VALU_DEP_3)
	v_and_b32_e32 v2, 0x7f800000, v1
	v_and_b32_e32 v6, 0xffff, v1
	v_lshrrev_b32_e32 v1, 16, v1
	v_cmp_eq_u32_e32 vcc_lo, 0x7f800000, v2
	s_delay_alu instid0(VALU_DEP_3) | instskip(SKIP_1) | instid1(SALU_CYCLE_1)
	v_cmp_ne_u32_e64 s0, 0, v6
	s_and_b32 s0, vcc_lo, s0
	v_cndmask_b32_e64 v2, 0, 1, s0
	s_delay_alu instid0(VALU_DEP_1)
	v_or_b32_e32 v1, v1, v2
	global_store_b16 v[4:5], v1, off
	s_branch .LBB17_2
.LBB17_20:
	s_endpgm
	.section	.rodata,"a",@progbits
	.p2align	6, 0x0
	.amdhsa_kernel naive_conv_ab_nonpacked_fwd_nhwc_ushort_double_ushort
		.amdhsa_group_segment_fixed_size 0
		.amdhsa_private_segment_fixed_size 0
		.amdhsa_kernarg_size 480
		.amdhsa_user_sgpr_count 2
		.amdhsa_user_sgpr_dispatch_ptr 0
		.amdhsa_user_sgpr_queue_ptr 0
		.amdhsa_user_sgpr_kernarg_segment_ptr 1
		.amdhsa_user_sgpr_dispatch_id 0
		.amdhsa_user_sgpr_kernarg_preload_length 0
		.amdhsa_user_sgpr_kernarg_preload_offset 0
		.amdhsa_user_sgpr_private_segment_size 0
		.amdhsa_wavefront_size32 1
		.amdhsa_uses_dynamic_stack 0
		.amdhsa_enable_private_segment 0
		.amdhsa_system_sgpr_workgroup_id_x 1
		.amdhsa_system_sgpr_workgroup_id_y 0
		.amdhsa_system_sgpr_workgroup_id_z 0
		.amdhsa_system_sgpr_workgroup_info 0
		.amdhsa_system_vgpr_workitem_id 0
		.amdhsa_next_free_vgpr 28
		.amdhsa_next_free_sgpr 69
		.amdhsa_named_barrier_count 0
		.amdhsa_reserve_vcc 1
		.amdhsa_float_round_mode_32 0
		.amdhsa_float_round_mode_16_64 0
		.amdhsa_float_denorm_mode_32 3
		.amdhsa_float_denorm_mode_16_64 3
		.amdhsa_fp16_overflow 0
		.amdhsa_memory_ordered 1
		.amdhsa_forward_progress 1
		.amdhsa_inst_pref_size 14
		.amdhsa_round_robin_scheduling 0
		.amdhsa_exception_fp_ieee_invalid_op 0
		.amdhsa_exception_fp_denorm_src 0
		.amdhsa_exception_fp_ieee_div_zero 0
		.amdhsa_exception_fp_ieee_overflow 0
		.amdhsa_exception_fp_ieee_underflow 0
		.amdhsa_exception_fp_ieee_inexact 0
		.amdhsa_exception_int_div_zero 0
	.end_amdhsa_kernel
	.text
.Lfunc_end17:
	.size	naive_conv_ab_nonpacked_fwd_nhwc_ushort_double_ushort, .Lfunc_end17-naive_conv_ab_nonpacked_fwd_nhwc_ushort_double_ushort
                                        ; -- End function
	.set naive_conv_ab_nonpacked_fwd_nhwc_ushort_double_ushort.num_vgpr, 28
	.set naive_conv_ab_nonpacked_fwd_nhwc_ushort_double_ushort.num_agpr, 0
	.set naive_conv_ab_nonpacked_fwd_nhwc_ushort_double_ushort.numbered_sgpr, 69
	.set naive_conv_ab_nonpacked_fwd_nhwc_ushort_double_ushort.num_named_barrier, 0
	.set naive_conv_ab_nonpacked_fwd_nhwc_ushort_double_ushort.private_seg_size, 0
	.set naive_conv_ab_nonpacked_fwd_nhwc_ushort_double_ushort.uses_vcc, 1
	.set naive_conv_ab_nonpacked_fwd_nhwc_ushort_double_ushort.uses_flat_scratch, 0
	.set naive_conv_ab_nonpacked_fwd_nhwc_ushort_double_ushort.has_dyn_sized_stack, 0
	.set naive_conv_ab_nonpacked_fwd_nhwc_ushort_double_ushort.has_recursion, 0
	.set naive_conv_ab_nonpacked_fwd_nhwc_ushort_double_ushort.has_indirect_call, 0
	.section	.AMDGPU.csdata,"",@progbits
; Kernel info:
; codeLenInByte = 1680
; TotalNumSgprs: 71
; NumVgprs: 28
; ScratchSize: 0
; MemoryBound: 0
; FloatMode: 240
; IeeeMode: 1
; LDSByteSize: 0 bytes/workgroup (compile time only)
; SGPRBlocks: 0
; VGPRBlocks: 1
; NumSGPRsForWavesPerEU: 71
; NumVGPRsForWavesPerEU: 28
; NamedBarCnt: 0
; Occupancy: 16
; WaveLimiterHint : 0
; COMPUTE_PGM_RSRC2:SCRATCH_EN: 0
; COMPUTE_PGM_RSRC2:USER_SGPR: 2
; COMPUTE_PGM_RSRC2:TRAP_HANDLER: 0
; COMPUTE_PGM_RSRC2:TGID_X_EN: 1
; COMPUTE_PGM_RSRC2:TGID_Y_EN: 0
; COMPUTE_PGM_RSRC2:TGID_Z_EN: 0
; COMPUTE_PGM_RSRC2:TIDIG_COMP_CNT: 0
	.text
	.protected	naive_conv_ab_packed_fwd_nhwc_int8_t_int32_t_int8_t ; -- Begin function naive_conv_ab_packed_fwd_nhwc_int8_t_int32_t_int8_t
	.globl	naive_conv_ab_packed_fwd_nhwc_int8_t_int32_t_int8_t
	.p2align	8
	.type	naive_conv_ab_packed_fwd_nhwc_int8_t_int32_t_int8_t,@function
naive_conv_ab_packed_fwd_nhwc_int8_t_int32_t_int8_t: ; @naive_conv_ab_packed_fwd_nhwc_int8_t_int32_t_int8_t
; %bb.0:
	s_load_b512 s[4:19], s[0:1], 0xa0
	s_bfe_u32 s2, ttmp6, 0x4000c
	s_and_b32 s3, ttmp6, 15
	s_add_co_i32 s2, s2, 1
	s_getreg_b32 s20, hwreg(HW_REG_IB_STS2, 6, 4)
	s_mul_i32 s2, ttmp9, s2
	s_mov_b32 s29, 0
	s_add_co_i32 s3, s3, s2
	s_cmp_eq_u32 s20, 0
	s_cselect_b32 s3, ttmp9, s3
	s_delay_alu instid0(SALU_CYCLE_1) | instskip(SKIP_2) | instid1(SALU_CYCLE_1)
	s_abs_i32 s22, s3
	s_wait_kmcnt 0x0
	s_abs_i32 s2, s9
	s_cvt_f32_u32 s20, s2
	s_sub_co_i32 s21, 0, s2
	s_delay_alu instid0(SALU_CYCLE_2) | instskip(SKIP_1) | instid1(TRANS32_DEP_1)
	v_rcp_iflag_f32_e32 v1, s20
	v_nop
	v_readfirstlane_b32 s20, v1
	s_mul_f32 s20, s20, 0x4f7ffffe
	s_delay_alu instid0(SALU_CYCLE_3) | instskip(NEXT) | instid1(SALU_CYCLE_3)
	s_cvt_u32_f32 s20, s20
	s_mul_i32 s21, s21, s20
	s_delay_alu instid0(SALU_CYCLE_1) | instskip(NEXT) | instid1(SALU_CYCLE_1)
	s_mul_hi_u32 s21, s20, s21
	s_add_co_i32 s20, s20, s21
	s_delay_alu instid0(SALU_CYCLE_1) | instskip(NEXT) | instid1(SALU_CYCLE_1)
	s_mul_hi_u32 s20, s22, s20
	s_mul_i32 s21, s20, s2
	s_delay_alu instid0(SALU_CYCLE_1)
	s_sub_co_i32 s21, s22, s21
	s_add_co_i32 s22, s20, 1
	s_sub_co_i32 s23, s21, s2
	s_cmp_ge_u32 s21, s2
	s_cselect_b32 s20, s22, s20
	s_cselect_b32 s21, s23, s21
	s_add_co_i32 s22, s20, 1
	s_cmp_ge_u32 s21, s2
	s_mov_b32 s21, exec_lo
	s_cselect_b32 s28, s22, s20
	s_abs_i32 s31, s6
	s_delay_alu instid0(SALU_CYCLE_1) | instskip(NEXT) | instid1(SALU_CYCLE_3)
	s_cvt_f32_u32 s2, s31
	v_rcp_iflag_f32_e32 v1, s2
	s_mul_i32 s2, s19, s7
	s_delay_alu instid0(SALU_CYCLE_1) | instskip(SKIP_1) | instid1(TRANS32_DEP_1)
	s_mul_i32 s6, s2, s10
	v_nop
	v_readfirstlane_b32 s20, v1
	v_cmpx_gt_i32_e64 s6, v0
	s_cbranch_execz .LBB18_18
; %bb.1:
	s_mul_f32 s30, s20, 0x4f7ffffe
	s_xor_b32 s33, s3, s9
	s_sub_co_i32 s34, 0, s31
	s_ashr_i32 s33, s33, 31
	s_cvt_u32_f32 s30, s30
	s_xor_b32 s28, s28, s33
	s_mov_b32 s35, s29
	s_sub_co_i32 s33, s28, s33
	s_mul_i32 s34, s34, s30
	s_abs_i32 s28, s33
	s_mul_hi_u32 s34, s30, s34
	s_ashr_i32 s38, s33, 31
	s_add_co_i32 s34, s30, s34
	s_mul_i32 s33, s33, s9
	s_mul_u64 s[34:35], s[28:29], s[34:35]
	s_sub_co_i32 s40, s3, s33
	s_mul_i32 s30, s35, s31
	s_load_b256 s[20:27], s[0:1], 0x0
	s_sub_co_i32 s28, s28, s30
	s_mul_i32 s33, s19, s8
	s_sub_co_i32 s3, s28, s31
	s_cmp_ge_u32 s28, s31
	s_mov_b32 s34, s5
	s_cselect_b32 s3, s3, s28
	s_mov_b32 s30, s4
	s_sub_co_i32 s19, s3, s31
	s_cmp_ge_u32 s3, s31
	s_mov_b32 s42, s10
	s_cselect_b32 s3, s19, s3
	s_ashr_i32 s31, s4, 31
	s_xor_b32 s3, s3, s38
	s_ashr_i32 s35, s5, 31
	s_sub_co_i32 s38, s3, s38
	s_ashr_i32 s5, s9, 31
	s_ashr_i32 s39, s38, 31
	;; [unrolled: 1-line block ×6, first 2 shown]
	s_mov_b32 s4, s9
	s_cmp_lt_i32 s17, 1
	s_mul_i32 s9, s40, s11
	s_cselect_b32 s45, -1, 0
	s_sub_co_i32 s15, s9, s15
	s_cmp_gt_i32 s18, 0
	s_mul_u64 s[4:5], s[38:39], s[4:5]
	s_cselect_b32 s46, -1, 0
	s_cmp_gt_i32 s8, 0
	s_wait_kmcnt 0x0
	v_cmp_neq_f64_e64 s28, s[24:25], 1.0
	v_cmp_neq_f64_e64 s49, s[26:27], 0
	s_cselect_b32 s47, -1, 0
	s_abs_i32 s48, s2
	s_load_b64 s[36:37], s[0:1], 0x20
	s_add_nc_u64 s[4:5], s[4:5], s[40:41]
	s_mul_u64 s[10:11], s[2:3], s[42:43]
	s_wait_xcnt 0x0
	s_load_b32 s0, s[0:1], 0xec
	s_cvt_f32_u32 s9, s48
	s_wait_xcnt 0x0
	s_abs_i32 s1, s7
	v_cvt_i32_f64_e32 v1, s[24:25]
	v_cvt_i32_f64_e32 v18, s[26:27]
	s_mul_u64 s[4:5], s[10:11], s[4:5]
	s_cvt_f32_u32 s10, s1
	v_rcp_iflag_f32_e32 v2, s9
	s_ashr_i32 s9, s8, 31
	s_ashr_i32 s41, s17, 31
	v_rcp_iflag_f32_e32 v3, s10
	s_mov_b32 s40, s17
	s_ashr_i32 s11, s7, 31
	s_mov_b32 s10, s7
	v_readfirstlane_b32 s19, v2
	s_mul_u64 s[38:39], s[30:31], s[38:39]
	s_delay_alu instid0(TRANS32_DEP_1)
	v_readfirstlane_b32 s24, v3
	v_mov_b32_e32 v3, 0
	s_mul_f32 s25, s19, 0x4f7ffffe
	s_wait_kmcnt 0x0
	s_and_b32 s50, s0, 0xffff
	s_sub_co_i32 s0, 0, s48
	s_mul_f32 s24, s24, 0x4f7ffffe
	s_cvt_u32_f32 s25, s25
	s_ashr_i32 s19, s18, 31
	s_add_nc_u64 s[4:5], s[36:37], s[4:5]
	s_cvt_u32_f32 s26, s24
	s_mul_i32 s0, s0, s25
	s_sub_co_i32 s24, 0, s1
	s_mul_hi_u32 s0, s25, s0
	s_mul_i32 s27, s24, s26
	s_add_co_i32 s24, s25, s0
	s_mul_hi_u32 s0, s26, s27
	s_mul_u64 s[36:37], s[18:19], s[8:9]
	s_or_b32 s49, s28, s49
	s_mov_b32 s25, s29
	s_add_co_i32 s26, s26, s0
	s_mov_b32 s27, s29
	s_mul_u64 s[40:41], s[36:37], s[40:41]
	s_mov_b32 s19, 0
	s_branch .LBB18_3
.LBB18_2:                               ;   in Loop: Header=BB18_3 Depth=1
	v_add_nc_u32_e32 v0, s50, v0
	global_store_b8 v[4:5], v20, off
	v_cmp_le_i32_e32 vcc_lo, s6, v0
	s_or_b32 s19, vcc_lo, s19
	s_wait_xcnt 0x0
	s_and_not1_b32 exec_lo, exec_lo, s19
	s_cbranch_execz .LBB18_18
.LBB18_3:                               ; =>This Loop Header: Depth=1
                                        ;     Child Loop BB18_8 Depth 2
                                        ;       Child Loop BB18_11 Depth 3
                                        ;         Child Loop BB18_14 Depth 4
	v_sub_nc_u32_e32 v2, 0, v0
	s_mov_b32 s0, -1
	s_delay_alu instid0(VALU_DEP_1) | instskip(NEXT) | instid1(VALU_DEP_1)
	v_max_i32_e32 v2, v0, v2
	v_mul_u64_e32 v[4:5], s[24:25], v[2:3]
	s_delay_alu instid0(VALU_DEP_1) | instskip(NEXT) | instid1(VALU_DEP_1)
	v_mul_lo_u32 v4, v5, s48
	v_dual_sub_nc_u32 v2, v2, v4 :: v_dual_add_nc_u32 v4, 1, v5
	s_delay_alu instid0(VALU_DEP_1) | instskip(SKIP_1) | instid1(VALU_DEP_3)
	v_subrev_nc_u32_e32 v6, s48, v2
	v_cmp_le_u32_e32 vcc_lo, s48, v2
	v_cndmask_b32_e32 v4, v5, v4, vcc_lo
	s_delay_alu instid0(VALU_DEP_3) | instskip(NEXT) | instid1(VALU_DEP_2)
	v_dual_cndmask_b32 v2, v2, v6 :: v_dual_ashrrev_i32 v5, 31, v0
	v_add_nc_u32_e32 v6, 1, v4
	s_delay_alu instid0(VALU_DEP_2) | instskip(NEXT) | instid1(VALU_DEP_2)
	v_cmp_le_u32_e32 vcc_lo, s48, v2
	v_dual_cndmask_b32 v2, v4, v6, vcc_lo :: v_dual_bitop2_b32 v5, s3, v5 bitop3:0x14
	s_delay_alu instid0(VALU_DEP_1) | instskip(NEXT) | instid1(VALU_DEP_1)
	v_xor_b32_e32 v2, v2, v5
	v_sub_nc_u32_e32 v19, v2, v5
	s_delay_alu instid0(VALU_DEP_1) | instskip(NEXT) | instid1(VALU_DEP_1)
	v_mul_lo_u32 v2, v19, s2
	v_sub_nc_u32_e32 v8, v0, v2
	s_delay_alu instid0(VALU_DEP_1) | instskip(NEXT) | instid1(VALU_DEP_1)
	v_dual_sub_nc_u32 v2, 0, v8 :: v_dual_ashrrev_i32 v9, 31, v8
	v_max_i32_e32 v2, v8, v2
	s_delay_alu instid0(VALU_DEP_1) | instskip(NEXT) | instid1(VALU_DEP_1)
	v_mul_u64_e32 v[4:5], s[26:27], v[2:3]
	v_mul_lo_u32 v4, v5, s1
	s_delay_alu instid0(VALU_DEP_1) | instskip(NEXT) | instid1(VALU_DEP_1)
	v_dual_sub_nc_u32 v2, v2, v4 :: v_dual_add_nc_u32 v4, 1, v5
	v_cmp_le_u32_e32 vcc_lo, s1, v2
	s_delay_alu instid0(VALU_DEP_2) | instskip(NEXT) | instid1(VALU_DEP_1)
	v_cndmask_b32_e32 v4, v5, v4, vcc_lo
	v_add_nc_u32_e32 v5, 1, v4
	v_subrev_nc_u32_e32 v6, s1, v2
	s_delay_alu instid0(VALU_DEP_1) | instskip(NEXT) | instid1(VALU_DEP_1)
	v_dual_cndmask_b32 v2, v2, v6, vcc_lo :: v_dual_bitop2_b32 v6, s11, v9 bitop3:0x14
	v_cmp_le_u32_e32 vcc_lo, s1, v2
	s_delay_alu instid0(VALU_DEP_4) | instskip(SKIP_1) | instid1(VALU_DEP_1)
	v_cndmask_b32_e32 v2, v4, v5, vcc_lo
	s_and_not1_b32 vcc_lo, exec_lo, s45
	v_xor_b32_e32 v2, v2, v6
	s_delay_alu instid0(VALU_DEP_1) | instskip(NEXT) | instid1(VALU_DEP_1)
	v_sub_nc_u32_e32 v10, v2, v6
                                        ; implicit-def: $vgpr6_vgpr7
	v_mul_lo_u32 v12, v10, s7
	s_delay_alu instid0(VALU_DEP_1) | instskip(NEXT) | instid1(VALU_DEP_1)
	v_sub_nc_u32_e32 v4, v8, v12
	v_dual_ashrrev_i32 v5, 31, v4 :: v_dual_ashrrev_i32 v11, 31, v10
	s_cbranch_vccnz .LBB18_5
; %bb.4:                                ;   in Loop: Header=BB18_3 Depth=1
	s_delay_alu instid0(VALU_DEP_1)
	v_mul_u64_e32 v[6:7], s[10:11], v[10:11]
	s_mov_b32 s0, 0
.LBB18_5:                               ;   in Loop: Header=BB18_3 Depth=1
	v_mov_b32_e32 v20, 0
	s_and_not1_b32 vcc_lo, exec_lo, s0
	s_cbranch_vccnz .LBB18_16
; %bb.6:                                ;   in Loop: Header=BB18_3 Depth=1
	v_mul_u64_e32 v[6:7], s[10:11], v[10:11]
	v_dual_mov_b32 v20, 0 :: v_dual_ashrrev_i32 v13, 31, v12
	v_mad_nc_i64_i32 v[10:11], v10, s8, s[20:21]
	s_mov_b32 s31, 0
	s_mov_b32 s28, s15
	s_delay_alu instid0(VALU_DEP_3) | instskip(NEXT) | instid1(VALU_DEP_1)
	v_add_nc_u64_e32 v[8:9], v[6:7], v[8:9]
	v_sub_nc_u64_e32 v[12:13], v[8:9], v[12:13]
	s_delay_alu instid0(VALU_DEP_1) | instskip(NEXT) | instid1(VALU_DEP_1)
	v_mad_nc_u64_u32 v[8:9], s40, v12, s[22:23]
	v_mad_u32 v2, s41, v12, v9
	v_mul_lo_u32 v12, v19, s12
	s_delay_alu instid0(VALU_DEP_2) | instskip(NEXT) | instid1(VALU_DEP_2)
	v_mad_u32 v9, s40, v13, v2
	v_subrev_nc_u32_e32 v21, s16, v12
	s_branch .LBB18_8
.LBB18_7:                               ;   in Loop: Header=BB18_8 Depth=2
	s_delay_alu instid0(VALU_DEP_1)
	v_add_nc_u64_e32 v[8:9], s[36:37], v[8:9]
	s_add_co_i32 s31, s31, 1
	s_add_co_i32 s28, s28, s13
	s_cmp_eq_u32 s31, s17
	s_cbranch_scc1 .LBB18_16
.LBB18_8:                               ;   Parent Loop BB18_3 Depth=1
                                        ; =>  This Loop Header: Depth=2
                                        ;       Child Loop BB18_11 Depth 3
                                        ;         Child Loop BB18_14 Depth 4
	s_and_not1_b32 vcc_lo, exec_lo, s46
	s_cbranch_vccnz .LBB18_7
; %bb.9:                                ;   in Loop: Header=BB18_8 Depth=2
	s_mul_i32 s0, s31, s13
	s_delay_alu instid0(VALU_DEP_1)
	v_mov_b64_e32 v[12:13], v[8:9]
	s_add_co_i32 s0, s0, s15
	v_mov_b32_e32 v2, v21
	s_cmp_lt_i32 s0, 0
	s_add_nc_u64 s[42:43], s[38:39], s[28:29]
	s_cselect_b32 s52, -1, 0
	s_cmp_ge_i32 s0, s30
	s_mul_u64 s[42:43], s[34:35], s[42:43]
	s_cselect_b32 s0, -1, 0
	s_mov_b32 s51, 0
	s_or_b32 s52, s52, s0
	s_branch .LBB18_11
.LBB18_10:                              ;   in Loop: Header=BB18_11 Depth=3
	v_add_nc_u64_e32 v[12:13], s[8:9], v[12:13]
	v_add_nc_u32_e32 v2, s14, v2
	s_add_co_i32 s51, s51, 1
	s_delay_alu instid0(SALU_CYCLE_1)
	s_cmp_eq_u32 s51, s18
	s_cbranch_scc1 .LBB18_7
.LBB18_11:                              ;   Parent Loop BB18_3 Depth=1
                                        ;     Parent Loop BB18_8 Depth=2
                                        ; =>    This Loop Header: Depth=3
                                        ;         Child Loop BB18_14 Depth 4
	s_and_not1_b32 vcc_lo, exec_lo, s47
	s_cbranch_vccnz .LBB18_10
; %bb.12:                               ;   in Loop: Header=BB18_11 Depth=3
	v_add_nc_u64_e32 v[16:17], s[42:43], v[2:3]
	v_mad_u32 v22, s51, s14, v21
	s_mov_b32 s53, s8
	s_delay_alu instid0(VALU_DEP_2) | instskip(NEXT) | instid1(VALU_DEP_2)
	v_mad_nc_u64_u32 v[14:15], s33, v16, v[10:11]
	v_cmp_gt_i32_e32 vcc_lo, 0, v22
	v_cmp_le_i32_e64 s0, s34, v22
	s_or_b32 s0, vcc_lo, s0
	v_mad_u32 v15, s44, v16, v15
	s_nor_b32 s0, s52, s0
	s_delay_alu instid0(VALU_DEP_1)
	v_mad_u32 v15, s33, v17, v15
	v_mov_b64_e32 v[16:17], v[12:13]
	s_branch .LBB18_14
.LBB18_13:                              ;   in Loop: Header=BB18_14 Depth=4
	s_wait_xcnt 0x0
	s_or_b32 exec_lo, exec_lo, s54
	s_delay_alu instid0(VALU_DEP_2) | instskip(SKIP_2) | instid1(SALU_CYCLE_1)
	v_add_nc_u64_e32 v[14:15], 1, v[14:15]
	v_add_nc_u64_e32 v[16:17], 1, v[16:17]
	s_add_co_i32 s53, s53, -1
	s_cmp_eq_u32 s53, 0
	s_cbranch_scc1 .LBB18_10
.LBB18_14:                              ;   Parent Loop BB18_3 Depth=1
                                        ;     Parent Loop BB18_8 Depth=2
                                        ;       Parent Loop BB18_11 Depth=3
                                        ; =>      This Inner Loop Header: Depth=4
	s_and_saveexec_b32 s54, s0
	s_cbranch_execz .LBB18_13
; %bb.15:                               ;   in Loop: Header=BB18_14 Depth=4
	global_load_u8 v22, v[14:15], off
	global_load_u8 v23, v[16:17], off
	s_wait_loadcnt 0x0
	v_mad_u32_u24 v20, v23, v22, v20
	s_branch .LBB18_13
.LBB18_16:                              ;   in Loop: Header=BB18_3 Depth=1
	s_delay_alu instid0(VALU_DEP_2) | instskip(SKIP_1) | instid1(VALU_DEP_1)
	v_add_nc_u64_e32 v[6:7], s[4:5], v[6:7]
	s_and_not1_b32 vcc_lo, exec_lo, s49
	v_mad_nc_i64_i32 v[6:7], v19, s2, v[6:7]
	s_delay_alu instid0(VALU_DEP_1)
	v_add_nc_u64_e32 v[4:5], v[6:7], v[4:5]
	s_cbranch_vccnz .LBB18_2
; %bb.17:                               ;   in Loop: Header=BB18_3 Depth=1
	global_load_u8 v2, v[4:5], off
	v_mul_lo_u32 v6, v20, v1
	s_wait_loadcnt 0x0
	s_delay_alu instid0(VALU_DEP_1)
	v_mad_u32 v20, v2, v18, v6
	s_branch .LBB18_2
.LBB18_18:
	s_endpgm
	.section	.rodata,"a",@progbits
	.p2align	6, 0x0
	.amdhsa_kernel naive_conv_ab_packed_fwd_nhwc_int8_t_int32_t_int8_t
		.amdhsa_group_segment_fixed_size 0
		.amdhsa_private_segment_fixed_size 0
		.amdhsa_kernarg_size 480
		.amdhsa_user_sgpr_count 2
		.amdhsa_user_sgpr_dispatch_ptr 0
		.amdhsa_user_sgpr_queue_ptr 0
		.amdhsa_user_sgpr_kernarg_segment_ptr 1
		.amdhsa_user_sgpr_dispatch_id 0
		.amdhsa_user_sgpr_kernarg_preload_length 0
		.amdhsa_user_sgpr_kernarg_preload_offset 0
		.amdhsa_user_sgpr_private_segment_size 0
		.amdhsa_wavefront_size32 1
		.amdhsa_uses_dynamic_stack 0
		.amdhsa_enable_private_segment 0
		.amdhsa_system_sgpr_workgroup_id_x 1
		.amdhsa_system_sgpr_workgroup_id_y 0
		.amdhsa_system_sgpr_workgroup_id_z 0
		.amdhsa_system_sgpr_workgroup_info 0
		.amdhsa_system_vgpr_workitem_id 0
		.amdhsa_next_free_vgpr 24
		.amdhsa_next_free_sgpr 55
		.amdhsa_named_barrier_count 0
		.amdhsa_reserve_vcc 1
		.amdhsa_float_round_mode_32 0
		.amdhsa_float_round_mode_16_64 0
		.amdhsa_float_denorm_mode_32 3
		.amdhsa_float_denorm_mode_16_64 3
		.amdhsa_fp16_overflow 0
		.amdhsa_memory_ordered 1
		.amdhsa_forward_progress 1
		.amdhsa_inst_pref_size 12
		.amdhsa_round_robin_scheduling 0
		.amdhsa_exception_fp_ieee_invalid_op 0
		.amdhsa_exception_fp_denorm_src 0
		.amdhsa_exception_fp_ieee_div_zero 0
		.amdhsa_exception_fp_ieee_overflow 0
		.amdhsa_exception_fp_ieee_underflow 0
		.amdhsa_exception_fp_ieee_inexact 0
		.amdhsa_exception_int_div_zero 0
	.end_amdhsa_kernel
	.text
.Lfunc_end18:
	.size	naive_conv_ab_packed_fwd_nhwc_int8_t_int32_t_int8_t, .Lfunc_end18-naive_conv_ab_packed_fwd_nhwc_int8_t_int32_t_int8_t
                                        ; -- End function
	.set naive_conv_ab_packed_fwd_nhwc_int8_t_int32_t_int8_t.num_vgpr, 24
	.set naive_conv_ab_packed_fwd_nhwc_int8_t_int32_t_int8_t.num_agpr, 0
	.set naive_conv_ab_packed_fwd_nhwc_int8_t_int32_t_int8_t.numbered_sgpr, 55
	.set naive_conv_ab_packed_fwd_nhwc_int8_t_int32_t_int8_t.num_named_barrier, 0
	.set naive_conv_ab_packed_fwd_nhwc_int8_t_int32_t_int8_t.private_seg_size, 0
	.set naive_conv_ab_packed_fwd_nhwc_int8_t_int32_t_int8_t.uses_vcc, 1
	.set naive_conv_ab_packed_fwd_nhwc_int8_t_int32_t_int8_t.uses_flat_scratch, 0
	.set naive_conv_ab_packed_fwd_nhwc_int8_t_int32_t_int8_t.has_dyn_sized_stack, 0
	.set naive_conv_ab_packed_fwd_nhwc_int8_t_int32_t_int8_t.has_recursion, 0
	.set naive_conv_ab_packed_fwd_nhwc_int8_t_int32_t_int8_t.has_indirect_call, 0
	.section	.AMDGPU.csdata,"",@progbits
; Kernel info:
; codeLenInByte = 1432
; TotalNumSgprs: 57
; NumVgprs: 24
; ScratchSize: 0
; MemoryBound: 0
; FloatMode: 240
; IeeeMode: 1
; LDSByteSize: 0 bytes/workgroup (compile time only)
; SGPRBlocks: 0
; VGPRBlocks: 1
; NumSGPRsForWavesPerEU: 57
; NumVGPRsForWavesPerEU: 24
; NamedBarCnt: 0
; Occupancy: 16
; WaveLimiterHint : 0
; COMPUTE_PGM_RSRC2:SCRATCH_EN: 0
; COMPUTE_PGM_RSRC2:USER_SGPR: 2
; COMPUTE_PGM_RSRC2:TRAP_HANDLER: 0
; COMPUTE_PGM_RSRC2:TGID_X_EN: 1
; COMPUTE_PGM_RSRC2:TGID_Y_EN: 0
; COMPUTE_PGM_RSRC2:TGID_Z_EN: 0
; COMPUTE_PGM_RSRC2:TIDIG_COMP_CNT: 0
	.text
	.protected	naive_conv_ab_nonpacked_fwd_nhwc_int8_t_int32_t_int8_t ; -- Begin function naive_conv_ab_nonpacked_fwd_nhwc_int8_t_int32_t_int8_t
	.globl	naive_conv_ab_nonpacked_fwd_nhwc_int8_t_int32_t_int8_t
	.p2align	8
	.type	naive_conv_ab_nonpacked_fwd_nhwc_int8_t_int32_t_int8_t,@function
naive_conv_ab_nonpacked_fwd_nhwc_int8_t_int32_t_int8_t: ; @naive_conv_ab_nonpacked_fwd_nhwc_int8_t_int32_t_int8_t
; %bb.0:
	s_load_b512 s[4:19], s[0:1], 0xa0
	s_bfe_u32 s2, ttmp6, 0x4000c
	s_and_b32 s3, ttmp6, 15
	s_add_co_i32 s2, s2, 1
	s_getreg_b32 s20, hwreg(HW_REG_IB_STS2, 6, 4)
	s_mul_i32 s2, ttmp9, s2
	s_delay_alu instid0(SALU_CYCLE_1) | instskip(SKIP_2) | instid1(SALU_CYCLE_1)
	s_add_co_i32 s3, s3, s2
	s_cmp_eq_u32 s20, 0
	s_cselect_b32 s28, ttmp9, s3
	s_abs_i32 s21, s28
	s_wait_kmcnt 0x0
	s_abs_i32 s2, s9
	s_delay_alu instid0(SALU_CYCLE_1) | instskip(SKIP_1) | instid1(SALU_CYCLE_2)
	s_cvt_f32_u32 s3, s2
	s_sub_co_i32 s20, 0, s2
	v_rcp_iflag_f32_e32 v1, s3
	v_nop
	s_delay_alu instid0(TRANS32_DEP_1) | instskip(SKIP_1) | instid1(SALU_CYCLE_3)
	v_readfirstlane_b32 s3, v1
	s_mul_f32 s3, s3, 0x4f7ffffe
	s_cvt_u32_f32 s3, s3
	s_delay_alu instid0(SALU_CYCLE_3) | instskip(NEXT) | instid1(SALU_CYCLE_1)
	s_mul_i32 s20, s20, s3
	s_mul_hi_u32 s20, s3, s20
	s_delay_alu instid0(SALU_CYCLE_1) | instskip(NEXT) | instid1(SALU_CYCLE_1)
	s_add_co_i32 s3, s3, s20
	s_mul_hi_u32 s3, s21, s3
	s_delay_alu instid0(SALU_CYCLE_1) | instskip(NEXT) | instid1(SALU_CYCLE_1)
	s_mul_i32 s20, s3, s2
	s_sub_co_i32 s20, s21, s20
	s_add_co_i32 s21, s3, 1
	s_sub_co_i32 s22, s20, s2
	s_cmp_ge_u32 s20, s2
	s_cselect_b32 s3, s21, s3
	s_cselect_b32 s20, s22, s20
	s_add_co_i32 s21, s3, 1
	s_cmp_ge_u32 s20, s2
	s_mov_b32 s20, exec_lo
	s_cselect_b32 s2, s21, s3
	s_abs_i32 s29, s6
	s_mul_i32 s6, s19, s7
	s_cvt_f32_u32 s3, s29
	s_mul_i32 s19, s6, s10
	s_delay_alu instid0(SALU_CYCLE_2) | instskip(SKIP_2) | instid1(TRANS32_DEP_1)
	v_rcp_iflag_f32_e32 v1, s3
	s_mov_b32 s3, 0
	v_nop
	v_readfirstlane_b32 s10, v1
	v_cmpx_gt_i32_e64 s19, v0
	s_cbranch_execz .LBB19_18
; %bb.1:
	s_mul_f32 s10, s10, 0x4f7ffffe
	s_xor_b32 s20, s28, s9
	s_sub_co_i32 s21, 0, s29
	s_ashr_i32 s20, s20, 31
	s_cvt_u32_f32 s10, s10
	s_xor_b32 s2, s2, s20
	s_mov_b32 s31, s3
	s_sub_co_i32 s33, s2, s20
	s_mul_i32 s21, s21, s10
	s_abs_i32 s2, s33
	s_mul_hi_u32 s20, s10, s21
	s_ashr_i32 s34, s33, 31
	s_add_co_i32 s30, s10, s20
	s_load_b256 s[20:27], s[0:1], 0x0
	s_mul_u64 s[30:31], s[2:3], s[30:31]
	s_mul_i32 s33, s33, s9
	s_mul_i32 s10, s31, s29
	s_load_b64 s[62:63], s[0:1], 0x20
	s_sub_co_i32 s2, s2, s10
	s_sub_co_i32 s10, s28, s33
	s_sub_co_i32 s9, s2, s29
	s_cmp_ge_u32 s2, s29
	s_mul_i32 s33, s10, s11
	s_cselect_b32 s2, s9, s2
	s_load_b512 s[36:51], s[0:1], 0x28
	s_sub_co_i32 s9, s2, s29
	s_cmp_ge_u32 s2, s29
	s_clause 0x1
	s_load_b64 s[64:65], s[0:1], 0x98
	s_load_b128 s[28:31], s[0:1], 0x88
	s_cselect_b32 s2, s9, s2
	s_ashr_i32 s11, s10, 31
	s_xor_b32 s2, s2, s34
	s_load_b32 s68, s[0:1], 0xec
	s_sub_co_i32 s66, s2, s34
	s_wait_kmcnt 0x0
	v_cmp_neq_f64_e64 s2, s[24:25], 1.0
	s_ashr_i32 s67, s66, 31
	s_cmp_lt_i32 s17, 1
	v_cmp_neq_f64_e64 s61, s[26:27], 0
	s_cselect_b32 s9, -1, 0
	s_sub_co_i32 s15, s33, s15
	s_cmp_gt_i32 s18, 0
	v_cvt_i32_f64_e32 v18, s[24:25]
	s_cselect_b32 s33, -1, 0
	s_cmp_gt_i32 s8, 0
	v_cvt_i32_f64_e32 v19, s[26:27]
	s_cselect_b32 s34, -1, 0
	s_abs_i32 s35, s6
	s_abs_i32 s60, s7
	s_cvt_f32_u32 s52, s35
	s_cvt_f32_u32 s69, s60
	v_mov_b32_e32 v3, 0
	s_mul_u64 s[44:45], s[44:45], s[66:67]
	v_rcp_iflag_f32_e32 v1, s52
	v_rcp_iflag_f32_e32 v2, s69
	s_load_b256 s[52:59], s[0:1], 0x68
	s_wait_xcnt 0x0
	s_mul_u64 s[0:1], s[30:31], s[10:11]
	s_mul_u64 s[10:11], s[64:65], s[66:67]
	s_sub_co_i32 s30, 0, s60
	s_add_nc_u64 s[10:11], s[62:63], s[10:11]
	v_readfirstlane_b32 s24, v1
	v_readfirstlane_b32 s25, v2
	s_add_nc_u64 s[10:11], s[10:11], s[0:1]
	s_and_b32 s1, s68, 0xffff
	s_ashr_i32 s26, s6, 31
	s_mul_f32 s0, s24, 0x4f7ffffe
	s_mul_f32 s24, s25, 0x4f7ffffe
	s_sub_co_i32 s25, 0, s35
	s_add_nc_u64 s[20:21], s[20:21], s[44:45]
	s_cvt_u32_f32 s0, s0
	s_cvt_u32_f32 s24, s24
	s_or_b32 s27, s2, s61
	s_mov_b32 s31, s3
	s_mul_i32 s25, s25, s0
	s_mul_i32 s30, s30, s24
	s_mul_hi_u32 s2, s0, s25
	s_mov_b32 s25, s3
	s_add_co_i32 s2, s0, s2
	s_mul_hi_u32 s0, s24, s30
	s_ashr_i32 s30, s7, 31
	s_add_co_i32 s24, s24, s0
	s_branch .LBB19_3
.LBB19_2:                               ;   in Loop: Header=BB19_3 Depth=1
	v_add_nc_u32_e32 v0, s1, v0
	global_store_b8 v[4:5], v21, off
	v_cmp_le_i32_e32 vcc_lo, s19, v0
	s_or_b32 s31, vcc_lo, s31
	s_wait_xcnt 0x0
	s_and_not1_b32 exec_lo, exec_lo, s31
	s_cbranch_execz .LBB19_18
.LBB19_3:                               ; =>This Loop Header: Depth=1
                                        ;     Child Loop BB19_8 Depth 2
                                        ;       Child Loop BB19_11 Depth 3
                                        ;         Child Loop BB19_14 Depth 4
	v_sub_nc_u32_e32 v1, 0, v0
	s_mov_b32 s0, -1
	s_delay_alu instid0(VALU_DEP_1) | instskip(NEXT) | instid1(VALU_DEP_1)
	v_max_i32_e32 v2, v0, v1
	v_mul_u64_e32 v[4:5], s[2:3], v[2:3]
	s_delay_alu instid0(VALU_DEP_1) | instskip(NEXT) | instid1(VALU_DEP_1)
	v_mul_lo_u32 v1, v5, s35
	v_sub_nc_u32_e32 v1, v2, v1
	v_add_nc_u32_e32 v2, 1, v5
	s_delay_alu instid0(VALU_DEP_2) | instskip(NEXT) | instid1(VALU_DEP_2)
	v_cmp_le_u32_e32 vcc_lo, s35, v1
	v_cndmask_b32_e32 v2, v5, v2, vcc_lo
	v_subrev_nc_u32_e32 v4, s35, v1
	v_ashrrev_i32_e32 v5, 31, v0
	s_delay_alu instid0(VALU_DEP_2) | instskip(NEXT) | instid1(VALU_DEP_1)
	v_dual_cndmask_b32 v1, v1, v4 :: v_dual_add_nc_u32 v4, 1, v2
	v_cmp_le_u32_e32 vcc_lo, s35, v1
	s_delay_alu instid0(VALU_DEP_2) | instskip(NEXT) | instid1(VALU_DEP_1)
	v_dual_cndmask_b32 v1, v2, v4, vcc_lo :: v_dual_bitop2_b32 v5, s26, v5 bitop3:0x14
	v_xor_b32_e32 v1, v1, v5
	s_delay_alu instid0(VALU_DEP_1) | instskip(NEXT) | instid1(VALU_DEP_1)
	v_sub_nc_u32_e32 v20, v1, v5
	v_mul_lo_u32 v1, v20, s6
	s_delay_alu instid0(VALU_DEP_1) | instskip(NEXT) | instid1(VALU_DEP_1)
	v_sub_nc_u32_e32 v6, v0, v1
	v_sub_nc_u32_e32 v1, 0, v6
	s_delay_alu instid0(VALU_DEP_1) | instskip(NEXT) | instid1(VALU_DEP_1)
	v_max_i32_e32 v2, v6, v1
	v_mul_u64_e32 v[4:5], s[24:25], v[2:3]
	s_delay_alu instid0(VALU_DEP_1) | instskip(NEXT) | instid1(VALU_DEP_1)
	v_mul_lo_u32 v1, v5, s60
	v_sub_nc_u32_e32 v1, v2, v1
	v_dual_add_nc_u32 v2, 1, v5 :: v_dual_ashrrev_i32 v7, 31, v6
	s_delay_alu instid0(VALU_DEP_2) | instskip(SKIP_1) | instid1(VALU_DEP_3)
	v_subrev_nc_u32_e32 v4, s60, v1
	v_cmp_le_u32_e32 vcc_lo, s60, v1
	v_dual_cndmask_b32 v2, v5, v2, vcc_lo :: v_dual_bitop2_b32 v5, s30, v7 bitop3:0x14
	s_delay_alu instid0(VALU_DEP_1) | instskip(NEXT) | instid1(VALU_DEP_1)
	v_dual_cndmask_b32 v1, v1, v4 :: v_dual_add_nc_u32 v4, 1, v2
	v_cmp_le_u32_e32 vcc_lo, s60, v1
	s_delay_alu instid0(VALU_DEP_2) | instskip(SKIP_1) | instid1(VALU_DEP_1)
	v_cndmask_b32_e32 v1, v2, v4, vcc_lo
	s_and_not1_b32 vcc_lo, exec_lo, s9
	v_xor_b32_e32 v1, v1, v5
	s_delay_alu instid0(VALU_DEP_1) | instskip(NEXT) | instid1(VALU_DEP_1)
	v_sub_nc_u32_e32 v4, v1, v5
	v_mul_lo_u32 v8, v4, s7
	s_delay_alu instid0(VALU_DEP_1) | instskip(NEXT) | instid1(VALU_DEP_1)
	v_sub_nc_u32_e32 v2, v6, v8
	v_dual_ashrrev_i32 v1, 31, v2 :: v_dual_ashrrev_i32 v5, 31, v4
	s_cbranch_vccnz .LBB19_5
; %bb.4:                                ;   in Loop: Header=BB19_3 Depth=1
	s_mov_b32 s0, 0
.LBB19_5:                               ;   in Loop: Header=BB19_3 Depth=1
	v_mov_b32_e32 v21, 0
	s_and_not1_b32 vcc_lo, exec_lo, s0
	s_cbranch_vccnz .LBB19_16
; %bb.6:                                ;   in Loop: Header=BB19_3 Depth=1
	s_wait_kmcnt 0x0
	v_mul_u64_e32 v[10:11], s[54:55], v[4:5]
	v_dual_ashrrev_i32 v9, 31, v8 :: v_dual_mov_b32 v21, 0
	v_mul_lo_u32 v12, v20, s12
	s_mov_b32 s44, 0
	s_mov_b32 s45, s15
	s_delay_alu instid0(VALU_DEP_2) | instskip(SKIP_1) | instid1(VALU_DEP_3)
	v_sub_nc_u64_e32 v[8:9], v[6:7], v[8:9]
	v_mad_nc_u64_u32 v[6:7], s38, v4, s[20:21]
	v_subrev_nc_u32_e32 v22, s16, v12
	s_delay_alu instid0(VALU_DEP_2) | instskip(NEXT) | instid1(VALU_DEP_1)
	v_mad_u32 v7, s39, v4, v7
	v_mad_u32 v7, s38, v5, v7
	v_mad_nc_u64_u32 v[10:11], s52, v8, v[10:11]
	s_delay_alu instid0(VALU_DEP_1) | instskip(NEXT) | instid1(VALU_DEP_1)
	v_mad_u32 v8, s53, v8, v11
	v_mad_u32 v11, s52, v9, v8
	s_delay_alu instid0(VALU_DEP_1)
	v_add_nc_u64_e32 v[8:9], s[22:23], v[10:11]
	s_branch .LBB19_8
.LBB19_7:                               ;   in Loop: Header=BB19_8 Depth=2
	s_delay_alu instid0(VALU_DEP_1)
	v_add_nc_u64_e32 v[8:9], s[50:51], v[8:9]
	s_add_co_i32 s44, s44, 1
	s_add_co_i32 s45, s45, s13
	s_cmp_eq_u32 s44, s17
	s_cbranch_scc1 .LBB19_16
.LBB19_8:                               ;   Parent Loop BB19_3 Depth=1
                                        ; =>  This Loop Header: Depth=2
                                        ;       Child Loop BB19_11 Depth 3
                                        ;         Child Loop BB19_14 Depth 4
	s_and_not1_b32 vcc_lo, exec_lo, s33
	s_cbranch_vccnz .LBB19_7
; %bb.9:                                ;   in Loop: Header=BB19_8 Depth=2
	v_mad_nc_u64_u32 v[10:11], s42, s45, v[6:7]
	s_mul_i32 s0, s44, s13
	s_delay_alu instid0(VALU_DEP_2)
	v_mov_b64_e32 v[12:13], v[8:9]
	s_add_co_i32 s0, s0, s15
	v_mov_b32_e32 v23, v22
	s_cmp_lt_i32 s0, 0
	s_mov_b32 s61, 0
	s_cselect_b32 s62, -1, 0
	s_cmp_ge_i32 s0, s4
	s_cselect_b32 s0, -1, 0
	s_delay_alu instid0(VALU_DEP_3)
	v_mad_u32 v11, s43, s45, v11
	s_or_b32 s62, s62, s0
	s_branch .LBB19_11
.LBB19_10:                              ;   in Loop: Header=BB19_11 Depth=3
	v_add_nc_u64_e32 v[12:13], s[48:49], v[12:13]
	v_add_nc_u32_e32 v23, s14, v23
	s_add_co_i32 s61, s61, 1
	s_delay_alu instid0(SALU_CYCLE_1)
	s_cmp_eq_u32 s61, s18
	s_cbranch_scc1 .LBB19_7
.LBB19_11:                              ;   Parent Loop BB19_3 Depth=1
                                        ;     Parent Loop BB19_8 Depth=2
                                        ; =>    This Loop Header: Depth=3
                                        ;         Child Loop BB19_14 Depth 4
	s_and_not1_b32 vcc_lo, exec_lo, s34
	s_cbranch_vccnz .LBB19_10
; %bb.12:                               ;   in Loop: Header=BB19_11 Depth=3
	s_delay_alu instid0(VALU_DEP_1) | instskip(SKIP_2) | instid1(VALU_DEP_2)
	v_mad_nc_u64_u32 v[14:15], s40, v23, v[10:11]
	v_mad_u32 v16, s61, s14, v22
	s_mov_b32 s63, s8
	v_mad_u32 v15, s41, v23, v15
	s_delay_alu instid0(VALU_DEP_2) | instskip(SKIP_3) | instid1(SALU_CYCLE_1)
	v_cmp_gt_i32_e32 vcc_lo, 0, v16
	v_cmp_le_i32_e64 s0, s5, v16
	v_mov_b64_e32 v[16:17], v[12:13]
	s_or_b32 s0, vcc_lo, s0
	s_nor_b32 s0, s62, s0
	s_branch .LBB19_14
.LBB19_13:                              ;   in Loop: Header=BB19_14 Depth=4
	s_wait_xcnt 0x0
	s_or_b32 exec_lo, exec_lo, s64
	v_add_nc_u64_e32 v[16:17], s[46:47], v[16:17]
	v_add_nc_u64_e32 v[14:15], s[36:37], v[14:15]
	s_add_co_i32 s63, s63, -1
	s_delay_alu instid0(SALU_CYCLE_1)
	s_cmp_eq_u32 s63, 0
	s_cbranch_scc1 .LBB19_10
.LBB19_14:                              ;   Parent Loop BB19_3 Depth=1
                                        ;     Parent Loop BB19_8 Depth=2
                                        ;       Parent Loop BB19_11 Depth=3
                                        ; =>      This Inner Loop Header: Depth=4
	s_and_saveexec_b32 s64, s0
	s_cbranch_execz .LBB19_13
; %bb.15:                               ;   in Loop: Header=BB19_14 Depth=4
	global_load_u8 v24, v[14:15], off
	global_load_u8 v25, v[16:17], off
	s_wait_loadcnt 0x0
	v_mad_u32_u24 v21, v25, v24, v21
	s_branch .LBB19_13
.LBB19_16:                              ;   in Loop: Header=BB19_3 Depth=1
	s_wait_kmcnt 0x0
	v_mad_nc_u64_u32 v[6:7], v4, s58, s[10:11]
	s_and_not1_b32 vcc_lo, exec_lo, s27
	s_delay_alu instid0(VALU_DEP_1) | instskip(NEXT) | instid1(VALU_DEP_1)
	v_mad_u32 v5, v5, s58, v7
	v_mad_u32 v7, v4, s59, v5
	s_delay_alu instid0(VALU_DEP_1) | instskip(SKIP_1) | instid1(VALU_DEP_2)
	v_mad_nc_u64_u32 v[4:5], s28, v20, v[6:7]
	v_ashrrev_i32_e32 v6, 31, v20
	v_mad_u32 v5, s29, v20, v5
	s_delay_alu instid0(VALU_DEP_1) | instskip(NEXT) | instid1(VALU_DEP_1)
	v_mad_u32 v5, s28, v6, v5
	v_mad_nc_u64_u32 v[4:5], v2, s56, v[4:5]
	s_delay_alu instid0(VALU_DEP_1) | instskip(NEXT) | instid1(VALU_DEP_1)
	v_mad_u32 v1, v1, s56, v5
	v_mad_u32 v5, v2, s57, v1
	s_cbranch_vccnz .LBB19_2
; %bb.17:                               ;   in Loop: Header=BB19_3 Depth=1
	global_load_u8 v1, v[4:5], off
	v_mul_lo_u32 v2, v21, v18
	s_wait_loadcnt 0x0
	s_delay_alu instid0(VALU_DEP_1)
	v_mad_u32 v21, v1, v19, v2
	s_branch .LBB19_2
.LBB19_18:
	s_endpgm
	.section	.rodata,"a",@progbits
	.p2align	6, 0x0
	.amdhsa_kernel naive_conv_ab_nonpacked_fwd_nhwc_int8_t_int32_t_int8_t
		.amdhsa_group_segment_fixed_size 0
		.amdhsa_private_segment_fixed_size 0
		.amdhsa_kernarg_size 480
		.amdhsa_user_sgpr_count 2
		.amdhsa_user_sgpr_dispatch_ptr 0
		.amdhsa_user_sgpr_queue_ptr 0
		.amdhsa_user_sgpr_kernarg_segment_ptr 1
		.amdhsa_user_sgpr_dispatch_id 0
		.amdhsa_user_sgpr_kernarg_preload_length 0
		.amdhsa_user_sgpr_kernarg_preload_offset 0
		.amdhsa_user_sgpr_private_segment_size 0
		.amdhsa_wavefront_size32 1
		.amdhsa_uses_dynamic_stack 0
		.amdhsa_enable_private_segment 0
		.amdhsa_system_sgpr_workgroup_id_x 1
		.amdhsa_system_sgpr_workgroup_id_y 0
		.amdhsa_system_sgpr_workgroup_id_z 0
		.amdhsa_system_sgpr_workgroup_info 0
		.amdhsa_system_vgpr_workitem_id 0
		.amdhsa_next_free_vgpr 26
		.amdhsa_next_free_sgpr 70
		.amdhsa_named_barrier_count 0
		.amdhsa_reserve_vcc 1
		.amdhsa_float_round_mode_32 0
		.amdhsa_float_round_mode_16_64 0
		.amdhsa_float_denorm_mode_32 3
		.amdhsa_float_denorm_mode_16_64 3
		.amdhsa_fp16_overflow 0
		.amdhsa_memory_ordered 1
		.amdhsa_forward_progress 1
		.amdhsa_inst_pref_size 12
		.amdhsa_round_robin_scheduling 0
		.amdhsa_exception_fp_ieee_invalid_op 0
		.amdhsa_exception_fp_denorm_src 0
		.amdhsa_exception_fp_ieee_div_zero 0
		.amdhsa_exception_fp_ieee_overflow 0
		.amdhsa_exception_fp_ieee_underflow 0
		.amdhsa_exception_fp_ieee_inexact 0
		.amdhsa_exception_int_div_zero 0
	.end_amdhsa_kernel
	.text
.Lfunc_end19:
	.size	naive_conv_ab_nonpacked_fwd_nhwc_int8_t_int32_t_int8_t, .Lfunc_end19-naive_conv_ab_nonpacked_fwd_nhwc_int8_t_int32_t_int8_t
                                        ; -- End function
	.set naive_conv_ab_nonpacked_fwd_nhwc_int8_t_int32_t_int8_t.num_vgpr, 26
	.set naive_conv_ab_nonpacked_fwd_nhwc_int8_t_int32_t_int8_t.num_agpr, 0
	.set naive_conv_ab_nonpacked_fwd_nhwc_int8_t_int32_t_int8_t.numbered_sgpr, 70
	.set naive_conv_ab_nonpacked_fwd_nhwc_int8_t_int32_t_int8_t.num_named_barrier, 0
	.set naive_conv_ab_nonpacked_fwd_nhwc_int8_t_int32_t_int8_t.private_seg_size, 0
	.set naive_conv_ab_nonpacked_fwd_nhwc_int8_t_int32_t_int8_t.uses_vcc, 1
	.set naive_conv_ab_nonpacked_fwd_nhwc_int8_t_int32_t_int8_t.uses_flat_scratch, 0
	.set naive_conv_ab_nonpacked_fwd_nhwc_int8_t_int32_t_int8_t.has_dyn_sized_stack, 0
	.set naive_conv_ab_nonpacked_fwd_nhwc_int8_t_int32_t_int8_t.has_recursion, 0
	.set naive_conv_ab_nonpacked_fwd_nhwc_int8_t_int32_t_int8_t.has_indirect_call, 0
	.section	.AMDGPU.csdata,"",@progbits
; Kernel info:
; codeLenInByte = 1460
; TotalNumSgprs: 72
; NumVgprs: 26
; ScratchSize: 0
; MemoryBound: 0
; FloatMode: 240
; IeeeMode: 1
; LDSByteSize: 0 bytes/workgroup (compile time only)
; SGPRBlocks: 0
; VGPRBlocks: 1
; NumSGPRsForWavesPerEU: 72
; NumVGPRsForWavesPerEU: 26
; NamedBarCnt: 0
; Occupancy: 16
; WaveLimiterHint : 0
; COMPUTE_PGM_RSRC2:SCRATCH_EN: 0
; COMPUTE_PGM_RSRC2:USER_SGPR: 2
; COMPUTE_PGM_RSRC2:TRAP_HANDLER: 0
; COMPUTE_PGM_RSRC2:TGID_X_EN: 1
; COMPUTE_PGM_RSRC2:TGID_Y_EN: 0
; COMPUTE_PGM_RSRC2:TGID_Z_EN: 0
; COMPUTE_PGM_RSRC2:TIDIG_COMP_CNT: 0
	.text
	.protected	naive_conv_ab_packed_fwd_nhwc_int8_t_int32_t_int32_t ; -- Begin function naive_conv_ab_packed_fwd_nhwc_int8_t_int32_t_int32_t
	.globl	naive_conv_ab_packed_fwd_nhwc_int8_t_int32_t_int32_t
	.p2align	8
	.type	naive_conv_ab_packed_fwd_nhwc_int8_t_int32_t_int32_t,@function
naive_conv_ab_packed_fwd_nhwc_int8_t_int32_t_int32_t: ; @naive_conv_ab_packed_fwd_nhwc_int8_t_int32_t_int32_t
; %bb.0:
	s_load_b512 s[4:19], s[0:1], 0xa0
	s_bfe_u32 s2, ttmp6, 0x4000c
	s_and_b32 s3, ttmp6, 15
	s_add_co_i32 s2, s2, 1
	s_getreg_b32 s20, hwreg(HW_REG_IB_STS2, 6, 4)
	s_mul_i32 s2, ttmp9, s2
	s_mov_b32 s29, 0
	s_add_co_i32 s3, s3, s2
	s_cmp_eq_u32 s20, 0
	s_cselect_b32 s30, ttmp9, s3
	s_delay_alu instid0(SALU_CYCLE_1) | instskip(SKIP_2) | instid1(SALU_CYCLE_1)
	s_abs_i32 s21, s30
	s_wait_kmcnt 0x0
	s_abs_i32 s2, s9
	s_cvt_f32_u32 s3, s2
	s_sub_co_i32 s20, 0, s2
	s_delay_alu instid0(SALU_CYCLE_2) | instskip(SKIP_1) | instid1(TRANS32_DEP_1)
	v_rcp_iflag_f32_e32 v1, s3
	v_nop
	v_readfirstlane_b32 s3, v1
	s_mul_f32 s3, s3, 0x4f7ffffe
	s_delay_alu instid0(SALU_CYCLE_3) | instskip(NEXT) | instid1(SALU_CYCLE_3)
	s_cvt_u32_f32 s3, s3
	s_mul_i32 s20, s20, s3
	s_delay_alu instid0(SALU_CYCLE_1) | instskip(NEXT) | instid1(SALU_CYCLE_1)
	s_mul_hi_u32 s20, s3, s20
	s_add_co_i32 s3, s3, s20
	s_delay_alu instid0(SALU_CYCLE_1) | instskip(NEXT) | instid1(SALU_CYCLE_1)
	s_mul_hi_u32 s3, s21, s3
	s_mul_i32 s20, s3, s2
	s_delay_alu instid0(SALU_CYCLE_1)
	s_sub_co_i32 s20, s21, s20
	s_add_co_i32 s21, s3, 1
	s_sub_co_i32 s22, s20, s2
	s_cmp_ge_u32 s20, s2
	s_cselect_b32 s3, s21, s3
	s_cselect_b32 s20, s22, s20
	s_add_co_i32 s21, s3, 1
	s_cmp_ge_u32 s20, s2
	s_cselect_b32 s28, s21, s3
	s_abs_i32 s3, s6
	s_mov_b32 s21, exec_lo
	s_cvt_f32_u32 s2, s3
	s_delay_alu instid0(SALU_CYCLE_3) | instskip(SKIP_1) | instid1(SALU_CYCLE_1)
	v_rcp_iflag_f32_e32 v1, s2
	s_mul_i32 s2, s19, s7
	s_mul_i32 s6, s2, s10
	v_nop
	s_delay_alu instid0(TRANS32_DEP_1)
	v_readfirstlane_b32 s20, v1
	v_cmpx_gt_i32_e64 s6, v0
	s_cbranch_execz .LBB20_20
; %bb.1:
	s_mul_f32 s31, s20, 0x4f7ffffe
	s_xor_b32 s33, s30, s9
	s_sub_co_i32 s34, 0, s3
	s_ashr_i32 s33, s33, 31
	s_cvt_u32_f32 s31, s31
	s_xor_b32 s28, s28, s33
	s_mov_b32 s35, s29
	s_sub_co_i32 s33, s28, s33
	s_mul_i32 s34, s34, s31
	s_abs_i32 s28, s33
	s_mul_hi_u32 s34, s31, s34
	s_load_b256 s[20:27], s[0:1], 0x0
	s_add_co_i32 s34, s31, s34
	s_mov_b32 s42, s9
	s_mul_u64 s[34:35], s[28:29], s[34:35]
	s_ashr_i32 s34, s33, 31
	s_mul_i32 s31, s35, s3
	s_mul_i32 s33, s33, s9
	s_sub_co_i32 s28, s28, s31
	s_sub_co_i32 s40, s30, s33
	;; [unrolled: 1-line block ×3, first 2 shown]
	s_cmp_ge_u32 s28, s3
	s_mul_i32 s33, s19, s8
	s_cselect_b32 s19, s30, s28
	s_mov_b32 s44, s10
	s_sub_co_i32 s28, s19, s3
	s_cmp_ge_u32 s19, s3
	s_load_b64 s[36:37], s[0:1], 0x20
	s_cselect_b32 s3, s28, s19
	s_ashr_i32 s43, s9, 31
	s_xor_b32 s3, s3, s34
	s_ashr_i32 s45, s10, 31
	s_sub_co_i32 s38, s3, s34
	s_ashr_i32 s41, s40, 31
	s_ashr_i32 s39, s38, 31
	;; [unrolled: 1-line block ×3, first 2 shown]
	s_mul_u64 s[42:43], s[38:39], s[42:43]
	s_mul_u64 s[46:47], s[2:3], s[44:45]
	s_add_nc_u64 s[42:43], s[42:43], s[40:41]
	s_ashr_i32 s31, s4, 31
	s_mul_u64 s[42:43], s[46:47], s[42:43]
	s_ashr_i32 s35, s5, 31
	s_ashr_i32 s44, s33, 31
	s_lshl_b64 s[42:43], s[42:43], 2
	s_cmp_lt_i32 s17, 1
	s_mul_i32 s9, s40, s11
	s_cselect_b32 s45, -1, 0
	s_sub_co_i32 s15, s9, s15
	s_cmp_gt_i32 s18, 0
	s_wait_kmcnt 0x0
	v_cmp_neq_f64_e64 s28, s[24:25], 1.0
	s_cselect_b32 s46, -1, 0
	s_cmp_gt_i32 s8, 0
	v_cmp_neq_f64_e64 s49, s[26:27], 0
	s_cselect_b32 s47, -1, 0
	s_abs_i32 s48, s2
	s_mov_b32 s30, s4
	s_load_b32 s0, s[0:1], 0xec
	s_cvt_f32_u32 s4, s48
	s_wait_xcnt 0x0
	s_abs_i32 s1, s7
	v_cvt_i32_f64_e32 v1, s[24:25]
	v_cvt_i32_f64_e32 v18, s[26:27]
	s_cvt_f32_u32 s10, s1
	v_rcp_iflag_f32_e32 v2, s4
	s_ashr_i32 s9, s8, 31
	s_mov_b32 s34, s5
	v_rcp_iflag_f32_e32 v3, s10
	s_add_nc_u64 s[4:5], s[36:37], s[42:43]
	s_ashr_i32 s41, s17, 31
	s_mov_b32 s40, s17
	v_readfirstlane_b32 s19, v2
	s_ashr_i32 s11, s7, 31
	s_mov_b32 s10, s7
	v_readfirstlane_b32 s24, v3
	v_mov_b32_e32 v3, 0
	s_mul_f32 s25, s19, 0x4f7ffffe
	s_ashr_i32 s19, s18, 31
	s_wait_kmcnt 0x0
	s_and_b32 s50, s0, 0xffff
	s_mul_f32 s24, s24, 0x4f7ffffe
	s_cvt_u32_f32 s25, s25
	s_sub_co_i32 s0, 0, s48
	s_mul_u64 s[36:37], s[18:19], s[8:9]
	s_cvt_u32_f32 s26, s24
	s_mul_i32 s0, s0, s25
	s_sub_co_i32 s24, 0, s1
	s_mul_hi_u32 s0, s25, s0
	s_mul_i32 s27, s24, s26
	s_add_co_i32 s24, s25, s0
	s_mul_hi_u32 s0, s26, s27
	s_or_b32 s49, s28, s49
	s_mov_b32 s25, s29
	s_add_co_i32 s26, s26, s0
	s_mov_b32 s27, s29
	s_mul_u64 s[38:39], s[30:31], s[38:39]
	s_mul_u64 s[40:41], s[36:37], s[40:41]
	s_mov_b32 s19, 0
	s_branch .LBB20_3
.LBB20_2:                               ;   in Loop: Header=BB20_3 Depth=1
	v_add_nc_u32_e32 v0, s50, v0
	s_delay_alu instid0(VALU_DEP_1)
	v_cmp_le_i32_e32 vcc_lo, s6, v0
	s_or_b32 s19, vcc_lo, s19
	s_wait_xcnt 0x0
	s_and_not1_b32 exec_lo, exec_lo, s19
	s_cbranch_execz .LBB20_20
.LBB20_3:                               ; =>This Loop Header: Depth=1
                                        ;     Child Loop BB20_8 Depth 2
                                        ;       Child Loop BB20_11 Depth 3
                                        ;         Child Loop BB20_14 Depth 4
	v_sub_nc_u32_e32 v2, 0, v0
	s_mov_b32 s0, -1
	s_delay_alu instid0(VALU_DEP_1) | instskip(NEXT) | instid1(VALU_DEP_1)
	v_max_i32_e32 v2, v0, v2
	v_mul_u64_e32 v[4:5], s[24:25], v[2:3]
	s_delay_alu instid0(VALU_DEP_1) | instskip(NEXT) | instid1(VALU_DEP_1)
	v_mul_lo_u32 v4, v5, s48
	v_dual_sub_nc_u32 v2, v2, v4 :: v_dual_add_nc_u32 v4, 1, v5
	s_delay_alu instid0(VALU_DEP_1) | instskip(SKIP_1) | instid1(VALU_DEP_3)
	v_subrev_nc_u32_e32 v6, s48, v2
	v_cmp_le_u32_e32 vcc_lo, s48, v2
	v_cndmask_b32_e32 v4, v5, v4, vcc_lo
	s_delay_alu instid0(VALU_DEP_3) | instskip(NEXT) | instid1(VALU_DEP_2)
	v_dual_cndmask_b32 v2, v2, v6 :: v_dual_ashrrev_i32 v5, 31, v0
	v_add_nc_u32_e32 v6, 1, v4
	s_delay_alu instid0(VALU_DEP_2) | instskip(NEXT) | instid1(VALU_DEP_2)
	v_cmp_le_u32_e32 vcc_lo, s48, v2
	v_dual_cndmask_b32 v2, v4, v6, vcc_lo :: v_dual_bitop2_b32 v5, s3, v5 bitop3:0x14
	s_delay_alu instid0(VALU_DEP_1) | instskip(NEXT) | instid1(VALU_DEP_1)
	v_xor_b32_e32 v2, v2, v5
	v_sub_nc_u32_e32 v19, v2, v5
	s_delay_alu instid0(VALU_DEP_1) | instskip(NEXT) | instid1(VALU_DEP_1)
	v_mul_lo_u32 v2, v19, s2
	v_sub_nc_u32_e32 v8, v0, v2
	s_delay_alu instid0(VALU_DEP_1) | instskip(NEXT) | instid1(VALU_DEP_1)
	v_dual_sub_nc_u32 v2, 0, v8 :: v_dual_ashrrev_i32 v9, 31, v8
	v_max_i32_e32 v2, v8, v2
	s_delay_alu instid0(VALU_DEP_1) | instskip(NEXT) | instid1(VALU_DEP_1)
	v_mul_u64_e32 v[4:5], s[26:27], v[2:3]
	v_mul_lo_u32 v4, v5, s1
	s_delay_alu instid0(VALU_DEP_1) | instskip(NEXT) | instid1(VALU_DEP_1)
	v_dual_sub_nc_u32 v2, v2, v4 :: v_dual_add_nc_u32 v4, 1, v5
	v_cmp_le_u32_e32 vcc_lo, s1, v2
	s_delay_alu instid0(VALU_DEP_2) | instskip(NEXT) | instid1(VALU_DEP_1)
	v_cndmask_b32_e32 v4, v5, v4, vcc_lo
	v_add_nc_u32_e32 v5, 1, v4
	v_subrev_nc_u32_e32 v6, s1, v2
	s_delay_alu instid0(VALU_DEP_1) | instskip(NEXT) | instid1(VALU_DEP_1)
	v_dual_cndmask_b32 v2, v2, v6, vcc_lo :: v_dual_bitop2_b32 v6, s11, v9 bitop3:0x14
	v_cmp_le_u32_e32 vcc_lo, s1, v2
	s_delay_alu instid0(VALU_DEP_4) | instskip(SKIP_1) | instid1(VALU_DEP_1)
	v_cndmask_b32_e32 v2, v4, v5, vcc_lo
	s_and_not1_b32 vcc_lo, exec_lo, s45
	v_xor_b32_e32 v2, v2, v6
	s_delay_alu instid0(VALU_DEP_1) | instskip(NEXT) | instid1(VALU_DEP_1)
	v_sub_nc_u32_e32 v10, v2, v6
                                        ; implicit-def: $vgpr6_vgpr7
	v_mul_lo_u32 v12, v10, s7
	s_delay_alu instid0(VALU_DEP_1) | instskip(NEXT) | instid1(VALU_DEP_1)
	v_sub_nc_u32_e32 v4, v8, v12
	v_dual_ashrrev_i32 v5, 31, v4 :: v_dual_ashrrev_i32 v11, 31, v10
	s_cbranch_vccnz .LBB20_5
; %bb.4:                                ;   in Loop: Header=BB20_3 Depth=1
	s_delay_alu instid0(VALU_DEP_1)
	v_mul_u64_e32 v[6:7], s[10:11], v[10:11]
	s_mov_b32 s0, 0
.LBB20_5:                               ;   in Loop: Header=BB20_3 Depth=1
	v_mov_b32_e32 v20, 0
	s_and_not1_b32 vcc_lo, exec_lo, s0
	s_cbranch_vccnz .LBB20_16
; %bb.6:                                ;   in Loop: Header=BB20_3 Depth=1
	v_mul_u64_e32 v[6:7], s[10:11], v[10:11]
	v_dual_mov_b32 v20, 0 :: v_dual_ashrrev_i32 v13, 31, v12
	v_mad_nc_i64_i32 v[10:11], v10, s8, s[20:21]
	s_mov_b32 s31, 0
	s_mov_b32 s28, s15
	s_delay_alu instid0(VALU_DEP_3) | instskip(NEXT) | instid1(VALU_DEP_1)
	v_add_nc_u64_e32 v[8:9], v[6:7], v[8:9]
	v_sub_nc_u64_e32 v[12:13], v[8:9], v[12:13]
	s_delay_alu instid0(VALU_DEP_1) | instskip(NEXT) | instid1(VALU_DEP_1)
	v_mad_nc_u64_u32 v[8:9], s40, v12, s[22:23]
	v_mad_u32 v2, s41, v12, v9
	v_mul_lo_u32 v12, v19, s12
	s_delay_alu instid0(VALU_DEP_2) | instskip(NEXT) | instid1(VALU_DEP_2)
	v_mad_u32 v9, s40, v13, v2
	v_subrev_nc_u32_e32 v21, s16, v12
	s_branch .LBB20_8
.LBB20_7:                               ;   in Loop: Header=BB20_8 Depth=2
	s_delay_alu instid0(VALU_DEP_1)
	v_add_nc_u64_e32 v[8:9], s[36:37], v[8:9]
	s_add_co_i32 s31, s31, 1
	s_add_co_i32 s28, s28, s13
	s_cmp_eq_u32 s31, s17
	s_cbranch_scc1 .LBB20_16
.LBB20_8:                               ;   Parent Loop BB20_3 Depth=1
                                        ; =>  This Loop Header: Depth=2
                                        ;       Child Loop BB20_11 Depth 3
                                        ;         Child Loop BB20_14 Depth 4
	s_and_not1_b32 vcc_lo, exec_lo, s46
	s_cbranch_vccnz .LBB20_7
; %bb.9:                                ;   in Loop: Header=BB20_8 Depth=2
	s_mul_i32 s0, s31, s13
	s_delay_alu instid0(VALU_DEP_1)
	v_mov_b64_e32 v[12:13], v[8:9]
	s_add_co_i32 s0, s0, s15
	v_mov_b32_e32 v2, v21
	s_cmp_lt_i32 s0, 0
	s_add_nc_u64 s[42:43], s[38:39], s[28:29]
	s_cselect_b32 s52, -1, 0
	s_cmp_ge_i32 s0, s30
	s_mul_u64 s[42:43], s[34:35], s[42:43]
	s_cselect_b32 s0, -1, 0
	s_mov_b32 s51, 0
	s_or_b32 s52, s52, s0
	s_branch .LBB20_11
.LBB20_10:                              ;   in Loop: Header=BB20_11 Depth=3
	v_add_nc_u64_e32 v[12:13], s[8:9], v[12:13]
	v_add_nc_u32_e32 v2, s14, v2
	s_add_co_i32 s51, s51, 1
	s_delay_alu instid0(SALU_CYCLE_1)
	s_cmp_eq_u32 s51, s18
	s_cbranch_scc1 .LBB20_7
.LBB20_11:                              ;   Parent Loop BB20_3 Depth=1
                                        ;     Parent Loop BB20_8 Depth=2
                                        ; =>    This Loop Header: Depth=3
                                        ;         Child Loop BB20_14 Depth 4
	s_and_not1_b32 vcc_lo, exec_lo, s47
	s_cbranch_vccnz .LBB20_10
; %bb.12:                               ;   in Loop: Header=BB20_11 Depth=3
	v_add_nc_u64_e32 v[16:17], s[42:43], v[2:3]
	v_mad_u32 v22, s51, s14, v21
	s_mov_b32 s53, s8
	s_delay_alu instid0(VALU_DEP_2) | instskip(NEXT) | instid1(VALU_DEP_2)
	v_mad_nc_u64_u32 v[14:15], s33, v16, v[10:11]
	v_cmp_gt_i32_e32 vcc_lo, 0, v22
	v_cmp_le_i32_e64 s0, s34, v22
	s_or_b32 s0, vcc_lo, s0
	v_mad_u32 v15, s44, v16, v15
	s_nor_b32 s0, s52, s0
	s_delay_alu instid0(VALU_DEP_1)
	v_mad_u32 v15, s33, v17, v15
	v_mov_b64_e32 v[16:17], v[12:13]
	s_branch .LBB20_14
.LBB20_13:                              ;   in Loop: Header=BB20_14 Depth=4
	s_wait_xcnt 0x0
	s_or_b32 exec_lo, exec_lo, s54
	s_delay_alu instid0(VALU_DEP_2) | instskip(SKIP_2) | instid1(SALU_CYCLE_1)
	v_add_nc_u64_e32 v[14:15], 1, v[14:15]
	v_add_nc_u64_e32 v[16:17], 1, v[16:17]
	s_add_co_i32 s53, s53, -1
	s_cmp_eq_u32 s53, 0
	s_cbranch_scc1 .LBB20_10
.LBB20_14:                              ;   Parent Loop BB20_3 Depth=1
                                        ;     Parent Loop BB20_8 Depth=2
                                        ;       Parent Loop BB20_11 Depth=3
                                        ; =>      This Inner Loop Header: Depth=4
	s_and_saveexec_b32 s54, s0
	s_cbranch_execz .LBB20_13
; %bb.15:                               ;   in Loop: Header=BB20_14 Depth=4
	global_load_i8 v22, v[14:15], off
	global_load_i8 v23, v[16:17], off
	s_wait_loadcnt 0x0
	v_mad_i32_i24 v20, v23, v22, v20
	s_branch .LBB20_13
.LBB20_16:                              ;   in Loop: Header=BB20_3 Depth=1
	v_mad_nc_i64_i32 v[4:5], v19, s2, v[4:5]
	s_and_b32 vcc_lo, exec_lo, s49
	s_mov_b32 s0, -1
	s_delay_alu instid0(VALU_DEP_1) | instskip(NEXT) | instid1(VALU_DEP_1)
	v_add_nc_u64_e32 v[4:5], v[4:5], v[6:7]
	v_lshl_add_u64 v[4:5], v[4:5], 2, s[4:5]
	s_cbranch_vccz .LBB20_18
; %bb.17:                               ;   in Loop: Header=BB20_3 Depth=1
	global_load_b32 v2, v[4:5], off
	v_mul_lo_u32 v6, v20, v1
	s_mov_b32 s0, 0
	s_wait_loadcnt 0x0
	s_delay_alu instid0(VALU_DEP_1)
	v_mad_u32 v2, v2, v18, v6
	global_store_b32 v[4:5], v2, off
.LBB20_18:                              ;   in Loop: Header=BB20_3 Depth=1
	s_and_not1_b32 vcc_lo, exec_lo, s0
	s_cbranch_vccnz .LBB20_2
; %bb.19:                               ;   in Loop: Header=BB20_3 Depth=1
	global_store_b32 v[4:5], v20, off
	s_branch .LBB20_2
.LBB20_20:
	s_endpgm
	.section	.rodata,"a",@progbits
	.p2align	6, 0x0
	.amdhsa_kernel naive_conv_ab_packed_fwd_nhwc_int8_t_int32_t_int32_t
		.amdhsa_group_segment_fixed_size 0
		.amdhsa_private_segment_fixed_size 0
		.amdhsa_kernarg_size 480
		.amdhsa_user_sgpr_count 2
		.amdhsa_user_sgpr_dispatch_ptr 0
		.amdhsa_user_sgpr_queue_ptr 0
		.amdhsa_user_sgpr_kernarg_segment_ptr 1
		.amdhsa_user_sgpr_dispatch_id 0
		.amdhsa_user_sgpr_kernarg_preload_length 0
		.amdhsa_user_sgpr_kernarg_preload_offset 0
		.amdhsa_user_sgpr_private_segment_size 0
		.amdhsa_wavefront_size32 1
		.amdhsa_uses_dynamic_stack 0
		.amdhsa_enable_private_segment 0
		.amdhsa_system_sgpr_workgroup_id_x 1
		.amdhsa_system_sgpr_workgroup_id_y 0
		.amdhsa_system_sgpr_workgroup_id_z 0
		.amdhsa_system_sgpr_workgroup_info 0
		.amdhsa_system_vgpr_workitem_id 0
		.amdhsa_next_free_vgpr 24
		.amdhsa_next_free_sgpr 55
		.amdhsa_named_barrier_count 0
		.amdhsa_reserve_vcc 1
		.amdhsa_float_round_mode_32 0
		.amdhsa_float_round_mode_16_64 0
		.amdhsa_float_denorm_mode_32 3
		.amdhsa_float_denorm_mode_16_64 3
		.amdhsa_fp16_overflow 0
		.amdhsa_memory_ordered 1
		.amdhsa_forward_progress 1
		.amdhsa_inst_pref_size 12
		.amdhsa_round_robin_scheduling 0
		.amdhsa_exception_fp_ieee_invalid_op 0
		.amdhsa_exception_fp_denorm_src 0
		.amdhsa_exception_fp_ieee_div_zero 0
		.amdhsa_exception_fp_ieee_overflow 0
		.amdhsa_exception_fp_ieee_underflow 0
		.amdhsa_exception_fp_ieee_inexact 0
		.amdhsa_exception_int_div_zero 0
	.end_amdhsa_kernel
	.text
.Lfunc_end20:
	.size	naive_conv_ab_packed_fwd_nhwc_int8_t_int32_t_int32_t, .Lfunc_end20-naive_conv_ab_packed_fwd_nhwc_int8_t_int32_t_int32_t
                                        ; -- End function
	.set naive_conv_ab_packed_fwd_nhwc_int8_t_int32_t_int32_t.num_vgpr, 24
	.set naive_conv_ab_packed_fwd_nhwc_int8_t_int32_t_int32_t.num_agpr, 0
	.set naive_conv_ab_packed_fwd_nhwc_int8_t_int32_t_int32_t.numbered_sgpr, 55
	.set naive_conv_ab_packed_fwd_nhwc_int8_t_int32_t_int32_t.num_named_barrier, 0
	.set naive_conv_ab_packed_fwd_nhwc_int8_t_int32_t_int32_t.private_seg_size, 0
	.set naive_conv_ab_packed_fwd_nhwc_int8_t_int32_t_int32_t.uses_vcc, 1
	.set naive_conv_ab_packed_fwd_nhwc_int8_t_int32_t_int32_t.uses_flat_scratch, 0
	.set naive_conv_ab_packed_fwd_nhwc_int8_t_int32_t_int32_t.has_dyn_sized_stack, 0
	.set naive_conv_ab_packed_fwd_nhwc_int8_t_int32_t_int32_t.has_recursion, 0
	.set naive_conv_ab_packed_fwd_nhwc_int8_t_int32_t_int32_t.has_indirect_call, 0
	.section	.AMDGPU.csdata,"",@progbits
; Kernel info:
; codeLenInByte = 1460
; TotalNumSgprs: 57
; NumVgprs: 24
; ScratchSize: 0
; MemoryBound: 0
; FloatMode: 240
; IeeeMode: 1
; LDSByteSize: 0 bytes/workgroup (compile time only)
; SGPRBlocks: 0
; VGPRBlocks: 1
; NumSGPRsForWavesPerEU: 57
; NumVGPRsForWavesPerEU: 24
; NamedBarCnt: 0
; Occupancy: 16
; WaveLimiterHint : 0
; COMPUTE_PGM_RSRC2:SCRATCH_EN: 0
; COMPUTE_PGM_RSRC2:USER_SGPR: 2
; COMPUTE_PGM_RSRC2:TRAP_HANDLER: 0
; COMPUTE_PGM_RSRC2:TGID_X_EN: 1
; COMPUTE_PGM_RSRC2:TGID_Y_EN: 0
; COMPUTE_PGM_RSRC2:TGID_Z_EN: 0
; COMPUTE_PGM_RSRC2:TIDIG_COMP_CNT: 0
	.text
	.protected	naive_conv_ab_nonpacked_fwd_nhwc_int8_t_int32_t_int32_t ; -- Begin function naive_conv_ab_nonpacked_fwd_nhwc_int8_t_int32_t_int32_t
	.globl	naive_conv_ab_nonpacked_fwd_nhwc_int8_t_int32_t_int32_t
	.p2align	8
	.type	naive_conv_ab_nonpacked_fwd_nhwc_int8_t_int32_t_int32_t,@function
naive_conv_ab_nonpacked_fwd_nhwc_int8_t_int32_t_int32_t: ; @naive_conv_ab_nonpacked_fwd_nhwc_int8_t_int32_t_int32_t
; %bb.0:
	s_load_b512 s[4:19], s[0:1], 0xa0
	s_bfe_u32 s2, ttmp6, 0x4000c
	s_and_b32 s3, ttmp6, 15
	s_add_co_i32 s2, s2, 1
	s_getreg_b32 s20, hwreg(HW_REG_IB_STS2, 6, 4)
	s_mul_i32 s2, ttmp9, s2
	s_delay_alu instid0(SALU_CYCLE_1) | instskip(SKIP_2) | instid1(SALU_CYCLE_1)
	s_add_co_i32 s3, s3, s2
	s_cmp_eq_u32 s20, 0
	s_cselect_b32 s28, ttmp9, s3
	s_abs_i32 s21, s28
	s_wait_kmcnt 0x0
	s_abs_i32 s2, s9
	s_delay_alu instid0(SALU_CYCLE_1) | instskip(SKIP_1) | instid1(SALU_CYCLE_2)
	s_cvt_f32_u32 s3, s2
	s_sub_co_i32 s20, 0, s2
	v_rcp_iflag_f32_e32 v1, s3
	v_nop
	s_delay_alu instid0(TRANS32_DEP_1) | instskip(SKIP_1) | instid1(SALU_CYCLE_3)
	v_readfirstlane_b32 s3, v1
	s_mul_f32 s3, s3, 0x4f7ffffe
	s_cvt_u32_f32 s3, s3
	s_delay_alu instid0(SALU_CYCLE_3) | instskip(NEXT) | instid1(SALU_CYCLE_1)
	s_mul_i32 s20, s20, s3
	s_mul_hi_u32 s20, s3, s20
	s_delay_alu instid0(SALU_CYCLE_1) | instskip(NEXT) | instid1(SALU_CYCLE_1)
	s_add_co_i32 s3, s3, s20
	s_mul_hi_u32 s3, s21, s3
	s_delay_alu instid0(SALU_CYCLE_1) | instskip(NEXT) | instid1(SALU_CYCLE_1)
	s_mul_i32 s20, s3, s2
	s_sub_co_i32 s20, s21, s20
	s_add_co_i32 s21, s3, 1
	s_sub_co_i32 s22, s20, s2
	s_cmp_ge_u32 s20, s2
	s_cselect_b32 s3, s21, s3
	s_cselect_b32 s20, s22, s20
	s_add_co_i32 s21, s3, 1
	s_cmp_ge_u32 s20, s2
	s_mov_b32 s20, exec_lo
	s_cselect_b32 s2, s21, s3
	s_abs_i32 s29, s6
	s_mul_i32 s6, s19, s7
	s_cvt_f32_u32 s3, s29
	s_mul_i32 s19, s6, s10
	s_delay_alu instid0(SALU_CYCLE_2) | instskip(SKIP_2) | instid1(TRANS32_DEP_1)
	v_rcp_iflag_f32_e32 v1, s3
	s_mov_b32 s3, 0
	v_nop
	v_readfirstlane_b32 s10, v1
	v_cmpx_gt_i32_e64 s19, v0
	s_cbranch_execz .LBB21_20
; %bb.1:
	s_mul_f32 s10, s10, 0x4f7ffffe
	s_xor_b32 s30, s28, s9
	s_sub_co_i32 s33, 0, s29
	s_ashr_i32 s30, s30, 31
	s_cvt_u32_f32 s10, s10
	s_xor_b32 s2, s2, s30
	s_mov_b32 s31, s3
	s_sub_co_i32 s36, s2, s30
	s_mul_i32 s33, s33, s10
	s_abs_i32 s2, s36
	s_mul_hi_u32 s30, s10, s33
	s_clause 0x1
	s_load_b64 s[34:35], s[0:1], 0x98
	s_load_b128 s[52:55], s[0:1], 0x88
	s_add_co_i32 s30, s10, s30
	s_ashr_i32 s33, s36, 31
	s_mul_u64 s[30:31], s[2:3], s[30:31]
	s_mul_i32 s36, s36, s9
	s_mul_i32 s10, s31, s29
	s_load_b256 s[20:27], s[0:1], 0x0
	s_sub_co_i32 s2, s2, s10
	s_sub_co_i32 s10, s28, s36
	;; [unrolled: 1-line block ×3, first 2 shown]
	s_cmp_ge_u32 s2, s29
	s_mul_i32 s30, s10, s11
	s_cselect_b32 s2, s9, s2
	s_load_b64 s[58:59], s[0:1], 0x20
	s_sub_co_i32 s9, s2, s29
	s_cmp_ge_u32 s2, s29
	s_load_b512 s[36:51], s[0:1], 0x28
	s_cselect_b32 s2, s9, s2
	s_ashr_i32 s11, s10, 31
	s_xor_b32 s2, s2, s33
	s_wait_kmcnt 0x0
	s_mul_u64 s[10:11], s[54:55], s[10:11]
	s_sub_co_i32 s60, s2, s33
	s_lshl_b64 s[10:11], s[10:11], 2
	s_ashr_i32 s61, s60, 31
	s_load_b32 s62, s[0:1], 0xec
	s_mul_u64 s[28:29], s[34:35], s[60:61]
	v_cmp_neq_f64_e64 s2, s[24:25], 1.0
	s_lshl_b64 s[34:35], s[28:29], 2
	s_cmp_lt_i32 s17, 1
	v_cmp_neq_f64_e64 s57, s[26:27], 0
	s_cselect_b32 s9, -1, 0
	s_sub_co_i32 s15, s30, s15
	s_cmp_gt_i32 s18, 0
	v_cvt_i32_f64_e32 v20, s[24:25]
	s_cselect_b32 s33, -1, 0
	s_cmp_gt_i32 s8, 0
	v_cvt_i32_f64_e32 v21, s[26:27]
	s_cselect_b32 s54, -1, 0
	s_abs_i32 s55, s6
	s_abs_i32 s56, s7
	s_cvt_f32_u32 s28, s55
	s_cvt_f32_u32 s29, s56
	v_mov_b32_e32 v3, 0
	s_mul_u64 s[60:61], s[44:45], s[60:61]
	v_rcp_iflag_f32_e32 v1, s28
	v_rcp_iflag_f32_e32 v2, s29
	s_load_b256 s[24:31], s[0:1], 0x68
	s_wait_xcnt 0x0
	s_add_nc_u64 s[0:1], s[58:59], s[34:35]
	s_sub_co_i32 s58, 0, s56
	s_add_nc_u64 s[10:11], s[0:1], s[10:11]
	s_wait_kmcnt 0x0
	s_and_b32 s1, s62, 0xffff
	v_readfirstlane_b32 s34, v1
	v_readfirstlane_b32 s35, v2
	s_ashr_i32 s44, s6, 31
	s_ashr_i32 s45, s7, 31
	s_add_nc_u64 s[20:21], s[20:21], s[60:61]
	s_mul_f32 s0, s34, 0x4f7ffffe
	s_mul_f32 s34, s35, 0x4f7ffffe
	s_sub_co_i32 s35, 0, s55
	s_delay_alu instid0(SALU_CYCLE_1) | instskip(NEXT) | instid1(SALU_CYCLE_1)
	s_cvt_u32_f32 s0, s0
	s_cvt_u32_f32 s34, s34
	s_or_b32 s57, s2, s57
	s_delay_alu instid0(SALU_CYCLE_1) | instskip(NEXT) | instid1(SALU_CYCLE_1)
	s_mul_i32 s35, s35, s0
	s_mul_i32 s58, s58, s34
	s_mul_hi_u32 s2, s0, s35
	s_mul_hi_u32 s35, s34, s58
	s_add_co_i32 s2, s0, s2
	s_add_co_i32 s34, s34, s35
	s_mov_b32 s35, s3
	s_mov_b32 s58, s3
	s_branch .LBB21_3
.LBB21_2:                               ;   in Loop: Header=BB21_3 Depth=1
	v_add_nc_u32_e32 v0, s1, v0
	s_delay_alu instid0(VALU_DEP_1)
	v_cmp_le_i32_e32 vcc_lo, s19, v0
	s_or_b32 s58, vcc_lo, s58
	s_wait_xcnt 0x0
	s_and_not1_b32 exec_lo, exec_lo, s58
	s_cbranch_execz .LBB21_20
.LBB21_3:                               ; =>This Loop Header: Depth=1
                                        ;     Child Loop BB21_8 Depth 2
                                        ;       Child Loop BB21_11 Depth 3
                                        ;         Child Loop BB21_14 Depth 4
	v_sub_nc_u32_e32 v1, 0, v0
	s_mov_b32 s0, -1
	s_delay_alu instid0(VALU_DEP_1) | instskip(NEXT) | instid1(VALU_DEP_1)
	v_max_i32_e32 v2, v0, v1
	v_mul_u64_e32 v[4:5], s[2:3], v[2:3]
	s_delay_alu instid0(VALU_DEP_1) | instskip(NEXT) | instid1(VALU_DEP_1)
	v_mul_lo_u32 v1, v5, s55
	v_sub_nc_u32_e32 v1, v2, v1
	v_add_nc_u32_e32 v2, 1, v5
	s_delay_alu instid0(VALU_DEP_2) | instskip(NEXT) | instid1(VALU_DEP_2)
	v_cmp_le_u32_e32 vcc_lo, s55, v1
	v_cndmask_b32_e32 v2, v5, v2, vcc_lo
	v_subrev_nc_u32_e32 v4, s55, v1
	v_ashrrev_i32_e32 v5, 31, v0
	s_delay_alu instid0(VALU_DEP_2) | instskip(NEXT) | instid1(VALU_DEP_1)
	v_dual_cndmask_b32 v1, v1, v4 :: v_dual_add_nc_u32 v4, 1, v2
	v_cmp_le_u32_e32 vcc_lo, s55, v1
	s_delay_alu instid0(VALU_DEP_2) | instskip(NEXT) | instid1(VALU_DEP_1)
	v_dual_cndmask_b32 v1, v2, v4, vcc_lo :: v_dual_bitop2_b32 v5, s44, v5 bitop3:0x14
	v_xor_b32_e32 v1, v1, v5
	s_delay_alu instid0(VALU_DEP_1) | instskip(NEXT) | instid1(VALU_DEP_1)
	v_sub_nc_u32_e32 v4, v1, v5
	v_mul_lo_u32 v1, v4, s6
	s_delay_alu instid0(VALU_DEP_1) | instskip(NEXT) | instid1(VALU_DEP_1)
	v_sub_nc_u32_e32 v8, v0, v1
	v_sub_nc_u32_e32 v1, 0, v8
	s_delay_alu instid0(VALU_DEP_1) | instskip(NEXT) | instid1(VALU_DEP_1)
	v_max_i32_e32 v2, v8, v1
	v_mul_u64_e32 v[6:7], s[34:35], v[2:3]
	s_delay_alu instid0(VALU_DEP_1) | instskip(NEXT) | instid1(VALU_DEP_1)
	v_mul_lo_u32 v1, v7, s56
	v_dual_sub_nc_u32 v1, v2, v1 :: v_dual_add_nc_u32 v2, 1, v7
	v_ashrrev_i32_e32 v9, 31, v8
	s_delay_alu instid0(VALU_DEP_2) | instskip(SKIP_1) | instid1(VALU_DEP_3)
	v_subrev_nc_u32_e32 v5, s56, v1
	v_cmp_le_u32_e32 vcc_lo, s56, v1
	v_dual_cndmask_b32 v2, v7, v2, vcc_lo :: v_dual_bitop2_b32 v6, s45, v9 bitop3:0x14
	s_delay_alu instid0(VALU_DEP_1) | instskip(NEXT) | instid1(VALU_DEP_1)
	v_dual_cndmask_b32 v1, v1, v5, vcc_lo :: v_dual_add_nc_u32 v5, 1, v2
	v_cmp_le_u32_e32 vcc_lo, s56, v1
	s_delay_alu instid0(VALU_DEP_2) | instskip(SKIP_1) | instid1(VALU_DEP_1)
	v_cndmask_b32_e32 v1, v2, v5, vcc_lo
	s_and_not1_b32 vcc_lo, exec_lo, s9
	v_xor_b32_e32 v1, v1, v6
	s_delay_alu instid0(VALU_DEP_1) | instskip(NEXT) | instid1(VALU_DEP_1)
	v_sub_nc_u32_e32 v6, v1, v6
	v_mul_lo_u32 v10, v6, s7
	v_ashrrev_i32_e32 v7, 31, v6
	s_delay_alu instid0(VALU_DEP_2) | instskip(NEXT) | instid1(VALU_DEP_1)
	v_sub_nc_u32_e32 v2, v8, v10
	v_ashrrev_i32_e32 v1, 31, v2
	s_cbranch_vccnz .LBB21_5
; %bb.4:                                ;   in Loop: Header=BB21_3 Depth=1
	s_mov_b32 s0, 0
.LBB21_5:                               ;   in Loop: Header=BB21_3 Depth=1
	v_mov_b32_e32 v22, 0
	s_and_not1_b32 vcc_lo, exec_lo, s0
	s_cbranch_vccnz .LBB21_16
; %bb.6:                                ;   in Loop: Header=BB21_3 Depth=1
	v_mul_u64_e32 v[12:13], s[26:27], v[6:7]
	v_dual_mov_b32 v22, 0 :: v_dual_ashrrev_i32 v11, 31, v10
	s_mov_b32 s59, 0
	s_mov_b32 s60, s15
	s_delay_alu instid0(VALU_DEP_1) | instskip(SKIP_1) | instid1(VALU_DEP_1)
	v_sub_nc_u64_e32 v[10:11], v[8:9], v[10:11]
	v_mad_nc_u64_u32 v[8:9], s38, v6, s[20:21]
	v_mad_u32 v9, s39, v6, v9
	s_delay_alu instid0(VALU_DEP_1) | instskip(NEXT) | instid1(VALU_DEP_4)
	v_mad_u32 v9, s38, v7, v9
	v_mad_nc_u64_u32 v[12:13], s24, v10, v[12:13]
	s_delay_alu instid0(VALU_DEP_1) | instskip(NEXT) | instid1(VALU_DEP_1)
	v_mad_u32 v5, s25, v10, v13
	v_mad_u32 v13, s24, v11, v5
	v_mul_lo_u32 v5, v4, s12
	s_delay_alu instid0(VALU_DEP_2) | instskip(NEXT) | instid1(VALU_DEP_2)
	v_add_nc_u64_e32 v[10:11], s[22:23], v[12:13]
	v_subrev_nc_u32_e32 v5, s16, v5
	s_branch .LBB21_8
.LBB21_7:                               ;   in Loop: Header=BB21_8 Depth=2
	s_delay_alu instid0(VALU_DEP_1)
	v_add_nc_u64_e32 v[10:11], s[50:51], v[10:11]
	s_add_co_i32 s59, s59, 1
	s_add_co_i32 s60, s60, s13
	s_cmp_eq_u32 s59, s17
	s_cbranch_scc1 .LBB21_16
.LBB21_8:                               ;   Parent Loop BB21_3 Depth=1
                                        ; =>  This Loop Header: Depth=2
                                        ;       Child Loop BB21_11 Depth 3
                                        ;         Child Loop BB21_14 Depth 4
	s_and_not1_b32 vcc_lo, exec_lo, s33
	s_cbranch_vccnz .LBB21_7
; %bb.9:                                ;   in Loop: Header=BB21_8 Depth=2
	v_mad_nc_u64_u32 v[12:13], s42, s60, v[8:9]
	s_mul_i32 s0, s59, s13
	v_mov_b64_e32 v[14:15], v[10:11]
	s_add_co_i32 s0, s0, s15
	v_mov_b32_e32 v23, v5
	s_cmp_lt_i32 s0, 0
	s_mov_b32 s61, 0
	s_cselect_b32 s62, -1, 0
	s_cmp_ge_i32 s0, s4
	s_cselect_b32 s0, -1, 0
	s_delay_alu instid0(VALU_DEP_3)
	v_mad_u32 v13, s43, s60, v13
	s_or_b32 s62, s62, s0
	s_branch .LBB21_11
.LBB21_10:                              ;   in Loop: Header=BB21_11 Depth=3
	v_add_nc_u64_e32 v[14:15], s[48:49], v[14:15]
	v_add_nc_u32_e32 v23, s14, v23
	s_add_co_i32 s61, s61, 1
	s_delay_alu instid0(SALU_CYCLE_1)
	s_cmp_eq_u32 s61, s18
	s_cbranch_scc1 .LBB21_7
.LBB21_11:                              ;   Parent Loop BB21_3 Depth=1
                                        ;     Parent Loop BB21_8 Depth=2
                                        ; =>    This Loop Header: Depth=3
                                        ;         Child Loop BB21_14 Depth 4
	s_and_not1_b32 vcc_lo, exec_lo, s54
	s_cbranch_vccnz .LBB21_10
; %bb.12:                               ;   in Loop: Header=BB21_11 Depth=3
	s_delay_alu instid0(VALU_DEP_1) | instskip(SKIP_2) | instid1(VALU_DEP_2)
	v_mad_nc_u64_u32 v[16:17], s40, v23, v[12:13]
	v_mad_u32 v18, s61, s14, v5
	s_mov_b32 s63, s8
	v_mad_u32 v17, s41, v23, v17
	s_delay_alu instid0(VALU_DEP_2) | instskip(SKIP_3) | instid1(SALU_CYCLE_1)
	v_cmp_gt_i32_e32 vcc_lo, 0, v18
	v_cmp_le_i32_e64 s0, s5, v18
	v_mov_b64_e32 v[18:19], v[14:15]
	s_or_b32 s0, vcc_lo, s0
	s_nor_b32 s0, s62, s0
	s_branch .LBB21_14
.LBB21_13:                              ;   in Loop: Header=BB21_14 Depth=4
	s_wait_xcnt 0x0
	s_or_b32 exec_lo, exec_lo, s64
	v_add_nc_u64_e32 v[18:19], s[46:47], v[18:19]
	v_add_nc_u64_e32 v[16:17], s[36:37], v[16:17]
	s_add_co_i32 s63, s63, -1
	s_delay_alu instid0(SALU_CYCLE_1)
	s_cmp_eq_u32 s63, 0
	s_cbranch_scc1 .LBB21_10
.LBB21_14:                              ;   Parent Loop BB21_3 Depth=1
                                        ;     Parent Loop BB21_8 Depth=2
                                        ;       Parent Loop BB21_11 Depth=3
                                        ; =>      This Inner Loop Header: Depth=4
	s_and_saveexec_b32 s64, s0
	s_cbranch_execz .LBB21_13
; %bb.15:                               ;   in Loop: Header=BB21_14 Depth=4
	global_load_i8 v24, v[16:17], off
	global_load_i8 v25, v[18:19], off
	s_wait_loadcnt 0x0
	v_mad_i32_i24 v22, v25, v24, v22
	s_branch .LBB21_13
.LBB21_16:                              ;   in Loop: Header=BB21_3 Depth=1
	v_ashrrev_i32_e32 v5, 31, v4
	s_and_b32 vcc_lo, exec_lo, s57
	s_mov_b32 s0, -1
	s_delay_alu instid0(VALU_DEP_1) | instskip(NEXT) | instid1(VALU_DEP_1)
	v_mul_u64_e32 v[4:5], s[52:53], v[4:5]
	v_mad_nc_u64_u32 v[4:5], v2, s28, v[4:5]
	s_delay_alu instid0(VALU_DEP_1) | instskip(NEXT) | instid1(VALU_DEP_1)
	v_mad_u32 v1, v1, s28, v5
	v_mad_u32 v5, v2, s29, v1
	s_delay_alu instid0(VALU_DEP_1) | instskip(NEXT) | instid1(VALU_DEP_1)
	v_mad_nc_u64_u32 v[4:5], v6, s30, v[4:5]
	v_mad_u32 v1, v7, s30, v5
	s_delay_alu instid0(VALU_DEP_1) | instskip(NEXT) | instid1(VALU_DEP_1)
	v_mad_u32 v5, v6, s31, v1
	v_lshl_add_u64 v[4:5], v[4:5], 2, s[10:11]
	s_cbranch_vccz .LBB21_18
; %bb.17:                               ;   in Loop: Header=BB21_3 Depth=1
	global_load_b32 v1, v[4:5], off
	v_mul_lo_u32 v2, v22, v20
	s_mov_b32 s0, 0
	s_wait_loadcnt 0x0
	s_delay_alu instid0(VALU_DEP_1)
	v_mad_u32 v1, v1, v21, v2
	global_store_b32 v[4:5], v1, off
.LBB21_18:                              ;   in Loop: Header=BB21_3 Depth=1
	s_and_not1_b32 vcc_lo, exec_lo, s0
	s_cbranch_vccnz .LBB21_2
; %bb.19:                               ;   in Loop: Header=BB21_3 Depth=1
	global_store_b32 v[4:5], v22, off
	s_branch .LBB21_2
.LBB21_20:
	s_endpgm
	.section	.rodata,"a",@progbits
	.p2align	6, 0x0
	.amdhsa_kernel naive_conv_ab_nonpacked_fwd_nhwc_int8_t_int32_t_int32_t
		.amdhsa_group_segment_fixed_size 0
		.amdhsa_private_segment_fixed_size 0
		.amdhsa_kernarg_size 480
		.amdhsa_user_sgpr_count 2
		.amdhsa_user_sgpr_dispatch_ptr 0
		.amdhsa_user_sgpr_queue_ptr 0
		.amdhsa_user_sgpr_kernarg_segment_ptr 1
		.amdhsa_user_sgpr_dispatch_id 0
		.amdhsa_user_sgpr_kernarg_preload_length 0
		.amdhsa_user_sgpr_kernarg_preload_offset 0
		.amdhsa_user_sgpr_private_segment_size 0
		.amdhsa_wavefront_size32 1
		.amdhsa_uses_dynamic_stack 0
		.amdhsa_enable_private_segment 0
		.amdhsa_system_sgpr_workgroup_id_x 1
		.amdhsa_system_sgpr_workgroup_id_y 0
		.amdhsa_system_sgpr_workgroup_id_z 0
		.amdhsa_system_sgpr_workgroup_info 0
		.amdhsa_system_vgpr_workitem_id 0
		.amdhsa_next_free_vgpr 26
		.amdhsa_next_free_sgpr 65
		.amdhsa_named_barrier_count 0
		.amdhsa_reserve_vcc 1
		.amdhsa_float_round_mode_32 0
		.amdhsa_float_round_mode_16_64 0
		.amdhsa_float_denorm_mode_32 3
		.amdhsa_float_denorm_mode_16_64 3
		.amdhsa_fp16_overflow 0
		.amdhsa_memory_ordered 1
		.amdhsa_forward_progress 1
		.amdhsa_inst_pref_size 12
		.amdhsa_round_robin_scheduling 0
		.amdhsa_exception_fp_ieee_invalid_op 0
		.amdhsa_exception_fp_denorm_src 0
		.amdhsa_exception_fp_ieee_div_zero 0
		.amdhsa_exception_fp_ieee_overflow 0
		.amdhsa_exception_fp_ieee_underflow 0
		.amdhsa_exception_fp_ieee_inexact 0
		.amdhsa_exception_int_div_zero 0
	.end_amdhsa_kernel
	.text
.Lfunc_end21:
	.size	naive_conv_ab_nonpacked_fwd_nhwc_int8_t_int32_t_int32_t, .Lfunc_end21-naive_conv_ab_nonpacked_fwd_nhwc_int8_t_int32_t_int32_t
                                        ; -- End function
	.set naive_conv_ab_nonpacked_fwd_nhwc_int8_t_int32_t_int32_t.num_vgpr, 26
	.set naive_conv_ab_nonpacked_fwd_nhwc_int8_t_int32_t_int32_t.num_agpr, 0
	.set naive_conv_ab_nonpacked_fwd_nhwc_int8_t_int32_t_int32_t.numbered_sgpr, 65
	.set naive_conv_ab_nonpacked_fwd_nhwc_int8_t_int32_t_int32_t.num_named_barrier, 0
	.set naive_conv_ab_nonpacked_fwd_nhwc_int8_t_int32_t_int32_t.private_seg_size, 0
	.set naive_conv_ab_nonpacked_fwd_nhwc_int8_t_int32_t_int32_t.uses_vcc, 1
	.set naive_conv_ab_nonpacked_fwd_nhwc_int8_t_int32_t_int32_t.uses_flat_scratch, 0
	.set naive_conv_ab_nonpacked_fwd_nhwc_int8_t_int32_t_int32_t.has_dyn_sized_stack, 0
	.set naive_conv_ab_nonpacked_fwd_nhwc_int8_t_int32_t_int32_t.has_recursion, 0
	.set naive_conv_ab_nonpacked_fwd_nhwc_int8_t_int32_t_int32_t.has_indirect_call, 0
	.section	.AMDGPU.csdata,"",@progbits
; Kernel info:
; codeLenInByte = 1484
; TotalNumSgprs: 67
; NumVgprs: 26
; ScratchSize: 0
; MemoryBound: 0
; FloatMode: 240
; IeeeMode: 1
; LDSByteSize: 0 bytes/workgroup (compile time only)
; SGPRBlocks: 0
; VGPRBlocks: 1
; NumSGPRsForWavesPerEU: 67
; NumVGPRsForWavesPerEU: 26
; NamedBarCnt: 0
; Occupancy: 16
; WaveLimiterHint : 0
; COMPUTE_PGM_RSRC2:SCRATCH_EN: 0
; COMPUTE_PGM_RSRC2:USER_SGPR: 2
; COMPUTE_PGM_RSRC2:TRAP_HANDLER: 0
; COMPUTE_PGM_RSRC2:TGID_X_EN: 1
; COMPUTE_PGM_RSRC2:TGID_Y_EN: 0
; COMPUTE_PGM_RSRC2:TGID_Z_EN: 0
; COMPUTE_PGM_RSRC2:TIDIG_COMP_CNT: 0
	.text
	.protected	naive_conv_ab_packed_fwd_nhwc_int8_t_int32_t_float ; -- Begin function naive_conv_ab_packed_fwd_nhwc_int8_t_int32_t_float
	.globl	naive_conv_ab_packed_fwd_nhwc_int8_t_int32_t_float
	.p2align	8
	.type	naive_conv_ab_packed_fwd_nhwc_int8_t_int32_t_float,@function
naive_conv_ab_packed_fwd_nhwc_int8_t_int32_t_float: ; @naive_conv_ab_packed_fwd_nhwc_int8_t_int32_t_float
; %bb.0:
	s_load_b512 s[4:19], s[0:1], 0xa0
	s_bfe_u32 s2, ttmp6, 0x4000c
	s_and_b32 s3, ttmp6, 15
	s_add_co_i32 s2, s2, 1
	s_getreg_b32 s20, hwreg(HW_REG_IB_STS2, 6, 4)
	s_mul_i32 s2, ttmp9, s2
	s_mov_b32 s29, 0
	s_add_co_i32 s3, s3, s2
	s_cmp_eq_u32 s20, 0
	s_cselect_b32 s30, ttmp9, s3
	s_delay_alu instid0(SALU_CYCLE_1) | instskip(SKIP_2) | instid1(SALU_CYCLE_1)
	s_abs_i32 s21, s30
	s_wait_kmcnt 0x0
	s_abs_i32 s2, s9
	s_cvt_f32_u32 s3, s2
	s_sub_co_i32 s20, 0, s2
	s_delay_alu instid0(SALU_CYCLE_2) | instskip(SKIP_1) | instid1(TRANS32_DEP_1)
	v_rcp_iflag_f32_e32 v1, s3
	v_nop
	v_readfirstlane_b32 s3, v1
	s_mul_f32 s3, s3, 0x4f7ffffe
	s_delay_alu instid0(SALU_CYCLE_3) | instskip(NEXT) | instid1(SALU_CYCLE_3)
	s_cvt_u32_f32 s3, s3
	s_mul_i32 s20, s20, s3
	s_delay_alu instid0(SALU_CYCLE_1) | instskip(NEXT) | instid1(SALU_CYCLE_1)
	s_mul_hi_u32 s20, s3, s20
	s_add_co_i32 s3, s3, s20
	s_delay_alu instid0(SALU_CYCLE_1) | instskip(NEXT) | instid1(SALU_CYCLE_1)
	s_mul_hi_u32 s3, s21, s3
	s_mul_i32 s20, s3, s2
	s_delay_alu instid0(SALU_CYCLE_1)
	s_sub_co_i32 s20, s21, s20
	s_add_co_i32 s21, s3, 1
	s_sub_co_i32 s22, s20, s2
	s_cmp_ge_u32 s20, s2
	s_cselect_b32 s3, s21, s3
	s_cselect_b32 s20, s22, s20
	s_add_co_i32 s21, s3, 1
	s_cmp_ge_u32 s20, s2
	s_cselect_b32 s28, s21, s3
	s_abs_i32 s3, s6
	s_mov_b32 s21, exec_lo
	s_cvt_f32_u32 s2, s3
	s_delay_alu instid0(SALU_CYCLE_3) | instskip(SKIP_1) | instid1(SALU_CYCLE_1)
	v_rcp_iflag_f32_e32 v1, s2
	s_mul_i32 s2, s19, s7
	s_mul_i32 s6, s2, s10
	v_nop
	s_delay_alu instid0(TRANS32_DEP_1)
	v_readfirstlane_b32 s20, v1
	v_cmpx_gt_i32_e64 s6, v0
	s_cbranch_execz .LBB22_18
; %bb.1:
	s_mul_f32 s31, s20, 0x4f7ffffe
	s_xor_b32 s33, s30, s9
	s_sub_co_i32 s34, 0, s3
	s_ashr_i32 s33, s33, 31
	s_cvt_u32_f32 s31, s31
	s_xor_b32 s28, s28, s33
	s_mov_b32 s35, s29
	s_sub_co_i32 s33, s28, s33
	s_mul_i32 s34, s34, s31
	s_abs_i32 s28, s33
	s_mul_hi_u32 s34, s31, s34
	s_load_b256 s[20:27], s[0:1], 0x0
	s_add_co_i32 s34, s31, s34
	s_mov_b32 s42, s9
	s_mul_u64 s[34:35], s[28:29], s[34:35]
	s_ashr_i32 s34, s33, 31
	s_mul_i32 s31, s35, s3
	s_mul_i32 s33, s33, s9
	s_sub_co_i32 s28, s28, s31
	s_sub_co_i32 s40, s30, s33
	;; [unrolled: 1-line block ×3, first 2 shown]
	s_cmp_ge_u32 s28, s3
	s_mul_i32 s33, s19, s8
	s_cselect_b32 s19, s30, s28
	s_mov_b32 s44, s10
	s_sub_co_i32 s28, s19, s3
	s_cmp_ge_u32 s19, s3
	s_load_b64 s[36:37], s[0:1], 0x20
	s_cselect_b32 s3, s28, s19
	s_ashr_i32 s43, s9, 31
	s_xor_b32 s3, s3, s34
	s_ashr_i32 s45, s10, 31
	s_sub_co_i32 s38, s3, s34
	s_ashr_i32 s41, s40, 31
	s_ashr_i32 s39, s38, 31
	;; [unrolled: 1-line block ×3, first 2 shown]
	s_mul_u64 s[42:43], s[38:39], s[42:43]
	s_mul_u64 s[46:47], s[2:3], s[44:45]
	s_add_nc_u64 s[42:43], s[42:43], s[40:41]
	s_ashr_i32 s31, s4, 31
	s_mul_u64 s[42:43], s[46:47], s[42:43]
	s_ashr_i32 s35, s5, 31
	s_ashr_i32 s44, s33, 31
	s_lshl_b64 s[42:43], s[42:43], 2
	s_cmp_lt_i32 s17, 1
	s_mul_i32 s9, s40, s11
	s_cselect_b32 s45, -1, 0
	s_sub_co_i32 s15, s9, s15
	s_cmp_gt_i32 s18, 0
	s_wait_kmcnt 0x0
	v_cmp_neq_f64_e64 s28, s[24:25], 1.0
	s_cselect_b32 s46, -1, 0
	s_cmp_gt_i32 s8, 0
	v_cmp_neq_f64_e64 s49, s[26:27], 0
	s_cselect_b32 s47, -1, 0
	s_abs_i32 s48, s2
	s_mov_b32 s30, s4
	s_load_b32 s0, s[0:1], 0xec
	s_cvt_f32_u32 s4, s48
	s_wait_xcnt 0x0
	s_abs_i32 s1, s7
	v_cvt_i32_f64_e32 v1, s[24:25]
	v_cvt_i32_f64_e32 v20, s[26:27]
	s_cvt_f32_u32 s10, s1
	v_rcp_iflag_f32_e32 v2, s4
	s_ashr_i32 s9, s8, 31
	s_mov_b32 s34, s5
	v_rcp_iflag_f32_e32 v3, s10
	s_add_nc_u64 s[4:5], s[36:37], s[42:43]
	s_ashr_i32 s41, s17, 31
	s_mov_b32 s40, s17
	v_readfirstlane_b32 s19, v2
	s_ashr_i32 s11, s7, 31
	s_mov_b32 s10, s7
	v_readfirstlane_b32 s24, v3
	v_mov_b32_e32 v3, 0
	s_mul_f32 s25, s19, 0x4f7ffffe
	s_ashr_i32 s19, s18, 31
	s_wait_kmcnt 0x0
	s_and_b32 s50, s0, 0xffff
	s_mul_f32 s24, s24, 0x4f7ffffe
	s_cvt_u32_f32 s25, s25
	s_sub_co_i32 s0, 0, s48
	s_mul_u64 s[36:37], s[18:19], s[8:9]
	s_cvt_u32_f32 s26, s24
	s_mul_i32 s0, s0, s25
	s_sub_co_i32 s24, 0, s1
	s_mul_hi_u32 s0, s25, s0
	s_mul_i32 s27, s24, s26
	s_add_co_i32 s24, s25, s0
	s_mul_hi_u32 s0, s26, s27
	s_or_b32 s49, s28, s49
	s_mov_b32 s25, s29
	s_add_co_i32 s26, s26, s0
	s_mov_b32 s27, s29
	s_mul_u64 s[38:39], s[30:31], s[38:39]
	s_mul_u64 s[40:41], s[36:37], s[40:41]
	s_mov_b32 s19, 0
	s_branch .LBB22_3
.LBB22_2:                               ;   in Loop: Header=BB22_3 Depth=1
	v_add_nc_u32_e32 v0, s50, v0
	s_delay_alu instid0(VALU_DEP_2) | instskip(NEXT) | instid1(VALU_DEP_2)
	v_cvt_f32_i32_e32 v2, v21
	v_cmp_le_i32_e32 vcc_lo, s6, v0
	global_store_b32 v[4:5], v2, off
	s_or_b32 s19, vcc_lo, s19
	s_wait_xcnt 0x0
	s_and_not1_b32 exec_lo, exec_lo, s19
	s_cbranch_execz .LBB22_18
.LBB22_3:                               ; =>This Loop Header: Depth=1
                                        ;     Child Loop BB22_8 Depth 2
                                        ;       Child Loop BB22_11 Depth 3
                                        ;         Child Loop BB22_14 Depth 4
	v_sub_nc_u32_e32 v2, 0, v0
	s_mov_b32 s0, -1
                                        ; implicit-def: $vgpr8_vgpr9
	s_delay_alu instid0(VALU_DEP_1) | instskip(NEXT) | instid1(VALU_DEP_1)
	v_max_i32_e32 v2, v0, v2
	v_mul_u64_e32 v[4:5], s[24:25], v[2:3]
	s_delay_alu instid0(VALU_DEP_1) | instskip(NEXT) | instid1(VALU_DEP_1)
	v_mul_lo_u32 v4, v5, s48
	v_dual_sub_nc_u32 v2, v2, v4 :: v_dual_add_nc_u32 v4, 1, v5
	s_delay_alu instid0(VALU_DEP_1) | instskip(SKIP_1) | instid1(VALU_DEP_3)
	v_subrev_nc_u32_e32 v6, s48, v2
	v_cmp_le_u32_e32 vcc_lo, s48, v2
	v_cndmask_b32_e32 v4, v5, v4, vcc_lo
	s_delay_alu instid0(VALU_DEP_3) | instskip(NEXT) | instid1(VALU_DEP_2)
	v_dual_cndmask_b32 v2, v2, v6 :: v_dual_ashrrev_i32 v5, 31, v0
	v_add_nc_u32_e32 v6, 1, v4
	s_delay_alu instid0(VALU_DEP_2) | instskip(NEXT) | instid1(VALU_DEP_2)
	v_cmp_le_u32_e32 vcc_lo, s48, v2
	v_dual_cndmask_b32 v2, v4, v6, vcc_lo :: v_dual_bitop2_b32 v5, s3, v5 bitop3:0x14
	s_delay_alu instid0(VALU_DEP_1) | instskip(NEXT) | instid1(VALU_DEP_1)
	v_xor_b32_e32 v2, v2, v5
	v_sub_nc_u32_e32 v4, v2, v5
	s_delay_alu instid0(VALU_DEP_1) | instskip(NEXT) | instid1(VALU_DEP_1)
	v_mul_lo_u32 v2, v4, s2
	v_sub_nc_u32_e32 v10, v0, v2
	s_delay_alu instid0(VALU_DEP_1) | instskip(NEXT) | instid1(VALU_DEP_1)
	v_dual_sub_nc_u32 v2, 0, v10 :: v_dual_ashrrev_i32 v11, 31, v10
	v_max_i32_e32 v2, v10, v2
	s_delay_alu instid0(VALU_DEP_1) | instskip(NEXT) | instid1(VALU_DEP_1)
	v_mul_u64_e32 v[6:7], s[26:27], v[2:3]
	v_mul_lo_u32 v5, v7, s1
	s_delay_alu instid0(VALU_DEP_1) | instskip(NEXT) | instid1(VALU_DEP_1)
	v_dual_sub_nc_u32 v2, v2, v5 :: v_dual_add_nc_u32 v5, 1, v7
	v_subrev_nc_u32_e32 v6, s1, v2
	v_cmp_le_u32_e32 vcc_lo, s1, v2
	s_delay_alu instid0(VALU_DEP_2) | instskip(NEXT) | instid1(VALU_DEP_1)
	v_dual_cndmask_b32 v5, v7, v5 :: v_dual_cndmask_b32 v2, v2, v6
	v_dual_add_nc_u32 v6, 1, v5 :: v_dual_bitop2_b32 v7, s11, v11 bitop3:0x14
	s_delay_alu instid0(VALU_DEP_2) | instskip(NEXT) | instid1(VALU_DEP_2)
	v_cmp_le_u32_e32 vcc_lo, s1, v2
	v_cndmask_b32_e32 v2, v5, v6, vcc_lo
	s_and_not1_b32 vcc_lo, exec_lo, s45
	s_delay_alu instid0(VALU_DEP_1) | instskip(NEXT) | instid1(VALU_DEP_1)
	v_xor_b32_e32 v2, v2, v7
	v_sub_nc_u32_e32 v12, v2, v7
	s_delay_alu instid0(VALU_DEP_1) | instskip(NEXT) | instid1(VALU_DEP_1)
	v_mul_lo_u32 v14, v12, s7
	v_dual_ashrrev_i32 v13, 31, v12 :: v_dual_sub_nc_u32 v6, v10, v14
	s_delay_alu instid0(VALU_DEP_1)
	v_ashrrev_i32_e32 v7, 31, v6
	s_cbranch_vccnz .LBB22_5
; %bb.4:                                ;   in Loop: Header=BB22_3 Depth=1
	s_delay_alu instid0(VALU_DEP_2)
	v_mul_u64_e32 v[8:9], s[10:11], v[12:13]
	s_mov_b32 s0, 0
.LBB22_5:                               ;   in Loop: Header=BB22_3 Depth=1
	v_mov_b32_e32 v21, 0
	s_and_not1_b32 vcc_lo, exec_lo, s0
	s_cbranch_vccnz .LBB22_16
; %bb.6:                                ;   in Loop: Header=BB22_3 Depth=1
	v_mul_u64_e32 v[8:9], s[10:11], v[12:13]
	v_dual_ashrrev_i32 v15, 31, v14 :: v_dual_mov_b32 v21, 0
	v_mul_lo_u32 v5, v4, s12
	v_mad_nc_i64_i32 v[12:13], v12, s8, s[20:21]
	s_mov_b32 s31, 0
	s_mov_b32 s28, s15
	s_delay_alu instid0(VALU_DEP_2) | instskip(SKIP_1) | instid1(VALU_DEP_1)
	v_subrev_nc_u32_e32 v5, s16, v5
	v_add_nc_u64_e32 v[10:11], v[8:9], v[10:11]
	v_sub_nc_u64_e32 v[14:15], v[10:11], v[14:15]
	s_delay_alu instid0(VALU_DEP_1) | instskip(NEXT) | instid1(VALU_DEP_1)
	v_mad_nc_u64_u32 v[10:11], s40, v14, s[22:23]
	v_mad_u32 v2, s41, v14, v11
	s_delay_alu instid0(VALU_DEP_1)
	v_mad_u32 v11, s40, v15, v2
	s_branch .LBB22_8
.LBB22_7:                               ;   in Loop: Header=BB22_8 Depth=2
	s_delay_alu instid0(VALU_DEP_1)
	v_add_nc_u64_e32 v[10:11], s[36:37], v[10:11]
	s_add_co_i32 s31, s31, 1
	s_add_co_i32 s28, s28, s13
	s_cmp_eq_u32 s31, s17
	s_cbranch_scc1 .LBB22_16
.LBB22_8:                               ;   Parent Loop BB22_3 Depth=1
                                        ; =>  This Loop Header: Depth=2
                                        ;       Child Loop BB22_11 Depth 3
                                        ;         Child Loop BB22_14 Depth 4
	s_and_not1_b32 vcc_lo, exec_lo, s46
	s_cbranch_vccnz .LBB22_7
; %bb.9:                                ;   in Loop: Header=BB22_8 Depth=2
	s_mul_i32 s0, s31, s13
	s_delay_alu instid0(VALU_DEP_1)
	v_mov_b64_e32 v[14:15], v[10:11]
	s_add_co_i32 s0, s0, s15
	v_mov_b32_e32 v2, v5
	s_cmp_lt_i32 s0, 0
	s_add_nc_u64 s[42:43], s[38:39], s[28:29]
	s_cselect_b32 s52, -1, 0
	s_cmp_ge_i32 s0, s30
	s_mul_u64 s[42:43], s[34:35], s[42:43]
	s_cselect_b32 s0, -1, 0
	s_mov_b32 s51, 0
	s_or_b32 s52, s52, s0
	s_branch .LBB22_11
.LBB22_10:                              ;   in Loop: Header=BB22_11 Depth=3
	v_add_nc_u64_e32 v[14:15], s[8:9], v[14:15]
	v_add_nc_u32_e32 v2, s14, v2
	s_add_co_i32 s51, s51, 1
	s_delay_alu instid0(SALU_CYCLE_1)
	s_cmp_eq_u32 s51, s18
	s_cbranch_scc1 .LBB22_7
.LBB22_11:                              ;   Parent Loop BB22_3 Depth=1
                                        ;     Parent Loop BB22_8 Depth=2
                                        ; =>    This Loop Header: Depth=3
                                        ;         Child Loop BB22_14 Depth 4
	s_and_not1_b32 vcc_lo, exec_lo, s47
	s_cbranch_vccnz .LBB22_10
; %bb.12:                               ;   in Loop: Header=BB22_11 Depth=3
	v_add_nc_u64_e32 v[18:19], s[42:43], v[2:3]
	v_mad_u32 v22, s51, s14, v5
	s_mov_b32 s53, s8
	s_delay_alu instid0(VALU_DEP_2) | instskip(NEXT) | instid1(VALU_DEP_2)
	v_mad_nc_u64_u32 v[16:17], s33, v18, v[12:13]
	v_cmp_gt_i32_e32 vcc_lo, 0, v22
	v_cmp_le_i32_e64 s0, s34, v22
	s_or_b32 s0, vcc_lo, s0
	v_mad_u32 v17, s44, v18, v17
	s_nor_b32 s0, s52, s0
	s_delay_alu instid0(VALU_DEP_1)
	v_mad_u32 v17, s33, v19, v17
	v_mov_b64_e32 v[18:19], v[14:15]
	s_branch .LBB22_14
.LBB22_13:                              ;   in Loop: Header=BB22_14 Depth=4
	s_wait_xcnt 0x0
	s_or_b32 exec_lo, exec_lo, s54
	s_delay_alu instid0(VALU_DEP_2) | instskip(SKIP_2) | instid1(SALU_CYCLE_1)
	v_add_nc_u64_e32 v[16:17], 1, v[16:17]
	v_add_nc_u64_e32 v[18:19], 1, v[18:19]
	s_add_co_i32 s53, s53, -1
	s_cmp_eq_u32 s53, 0
	s_cbranch_scc1 .LBB22_10
.LBB22_14:                              ;   Parent Loop BB22_3 Depth=1
                                        ;     Parent Loop BB22_8 Depth=2
                                        ;       Parent Loop BB22_11 Depth=3
                                        ; =>      This Inner Loop Header: Depth=4
	s_and_saveexec_b32 s54, s0
	s_cbranch_execz .LBB22_13
; %bb.15:                               ;   in Loop: Header=BB22_14 Depth=4
	global_load_i8 v22, v[16:17], off
	global_load_i8 v23, v[18:19], off
	s_wait_loadcnt 0x0
	v_mad_i32_i24 v21, v23, v22, v21
	s_branch .LBB22_13
.LBB22_16:                              ;   in Loop: Header=BB22_3 Depth=1
	v_ashrrev_i32_e32 v5, 31, v4
	s_delay_alu instid0(VALU_DEP_3) | instskip(SKIP_1) | instid1(VALU_DEP_2)
	v_lshl_add_u64 v[8:9], v[8:9], 2, s[4:5]
	s_and_not1_b32 vcc_lo, exec_lo, s49
	v_mul_u64_e32 v[4:5], s[2:3], v[4:5]
	s_delay_alu instid0(VALU_DEP_1) | instskip(NEXT) | instid1(VALU_DEP_1)
	v_lshl_add_u64 v[4:5], v[4:5], 2, v[8:9]
	v_lshl_add_u64 v[4:5], v[6:7], 2, v[4:5]
	s_cbranch_vccnz .LBB22_2
; %bb.17:                               ;   in Loop: Header=BB22_3 Depth=1
	global_load_b32 v2, v[4:5], off
	v_mul_lo_u32 v6, v21, v1
	s_wait_loadcnt 0x0
	v_cvt_i32_f32_e32 v2, v2
	s_delay_alu instid0(VALU_DEP_1)
	v_mad_u32 v21, v2, v20, v6
	s_branch .LBB22_2
.LBB22_18:
	s_endpgm
	.section	.rodata,"a",@progbits
	.p2align	6, 0x0
	.amdhsa_kernel naive_conv_ab_packed_fwd_nhwc_int8_t_int32_t_float
		.amdhsa_group_segment_fixed_size 0
		.amdhsa_private_segment_fixed_size 0
		.amdhsa_kernarg_size 480
		.amdhsa_user_sgpr_count 2
		.amdhsa_user_sgpr_dispatch_ptr 0
		.amdhsa_user_sgpr_queue_ptr 0
		.amdhsa_user_sgpr_kernarg_segment_ptr 1
		.amdhsa_user_sgpr_dispatch_id 0
		.amdhsa_user_sgpr_kernarg_preload_length 0
		.amdhsa_user_sgpr_kernarg_preload_offset 0
		.amdhsa_user_sgpr_private_segment_size 0
		.amdhsa_wavefront_size32 1
		.amdhsa_uses_dynamic_stack 0
		.amdhsa_enable_private_segment 0
		.amdhsa_system_sgpr_workgroup_id_x 1
		.amdhsa_system_sgpr_workgroup_id_y 0
		.amdhsa_system_sgpr_workgroup_id_z 0
		.amdhsa_system_sgpr_workgroup_info 0
		.amdhsa_system_vgpr_workitem_id 0
		.amdhsa_next_free_vgpr 24
		.amdhsa_next_free_sgpr 55
		.amdhsa_named_barrier_count 0
		.amdhsa_reserve_vcc 1
		.amdhsa_float_round_mode_32 0
		.amdhsa_float_round_mode_16_64 0
		.amdhsa_float_denorm_mode_32 3
		.amdhsa_float_denorm_mode_16_64 3
		.amdhsa_fp16_overflow 0
		.amdhsa_memory_ordered 1
		.amdhsa_forward_progress 1
		.amdhsa_inst_pref_size 12
		.amdhsa_round_robin_scheduling 0
		.amdhsa_exception_fp_ieee_invalid_op 0
		.amdhsa_exception_fp_denorm_src 0
		.amdhsa_exception_fp_ieee_div_zero 0
		.amdhsa_exception_fp_ieee_overflow 0
		.amdhsa_exception_fp_ieee_underflow 0
		.amdhsa_exception_fp_ieee_inexact 0
		.amdhsa_exception_int_div_zero 0
	.end_amdhsa_kernel
	.text
.Lfunc_end22:
	.size	naive_conv_ab_packed_fwd_nhwc_int8_t_int32_t_float, .Lfunc_end22-naive_conv_ab_packed_fwd_nhwc_int8_t_int32_t_float
                                        ; -- End function
	.set naive_conv_ab_packed_fwd_nhwc_int8_t_int32_t_float.num_vgpr, 24
	.set naive_conv_ab_packed_fwd_nhwc_int8_t_int32_t_float.num_agpr, 0
	.set naive_conv_ab_packed_fwd_nhwc_int8_t_int32_t_float.numbered_sgpr, 55
	.set naive_conv_ab_packed_fwd_nhwc_int8_t_int32_t_float.num_named_barrier, 0
	.set naive_conv_ab_packed_fwd_nhwc_int8_t_int32_t_float.private_seg_size, 0
	.set naive_conv_ab_packed_fwd_nhwc_int8_t_int32_t_float.uses_vcc, 1
	.set naive_conv_ab_packed_fwd_nhwc_int8_t_int32_t_float.uses_flat_scratch, 0
	.set naive_conv_ab_packed_fwd_nhwc_int8_t_int32_t_float.has_dyn_sized_stack, 0
	.set naive_conv_ab_packed_fwd_nhwc_int8_t_int32_t_float.has_recursion, 0
	.set naive_conv_ab_packed_fwd_nhwc_int8_t_int32_t_float.has_indirect_call, 0
	.section	.AMDGPU.csdata,"",@progbits
; Kernel info:
; codeLenInByte = 1460
; TotalNumSgprs: 57
; NumVgprs: 24
; ScratchSize: 0
; MemoryBound: 0
; FloatMode: 240
; IeeeMode: 1
; LDSByteSize: 0 bytes/workgroup (compile time only)
; SGPRBlocks: 0
; VGPRBlocks: 1
; NumSGPRsForWavesPerEU: 57
; NumVGPRsForWavesPerEU: 24
; NamedBarCnt: 0
; Occupancy: 16
; WaveLimiterHint : 0
; COMPUTE_PGM_RSRC2:SCRATCH_EN: 0
; COMPUTE_PGM_RSRC2:USER_SGPR: 2
; COMPUTE_PGM_RSRC2:TRAP_HANDLER: 0
; COMPUTE_PGM_RSRC2:TGID_X_EN: 1
; COMPUTE_PGM_RSRC2:TGID_Y_EN: 0
; COMPUTE_PGM_RSRC2:TGID_Z_EN: 0
; COMPUTE_PGM_RSRC2:TIDIG_COMP_CNT: 0
	.text
	.protected	naive_conv_ab_nonpacked_fwd_nhwc_int8_t_int32_t_float ; -- Begin function naive_conv_ab_nonpacked_fwd_nhwc_int8_t_int32_t_float
	.globl	naive_conv_ab_nonpacked_fwd_nhwc_int8_t_int32_t_float
	.p2align	8
	.type	naive_conv_ab_nonpacked_fwd_nhwc_int8_t_int32_t_float,@function
naive_conv_ab_nonpacked_fwd_nhwc_int8_t_int32_t_float: ; @naive_conv_ab_nonpacked_fwd_nhwc_int8_t_int32_t_float
; %bb.0:
	s_load_b512 s[4:19], s[0:1], 0xa0
	s_bfe_u32 s2, ttmp6, 0x4000c
	s_and_b32 s3, ttmp6, 15
	s_add_co_i32 s2, s2, 1
	s_getreg_b32 s20, hwreg(HW_REG_IB_STS2, 6, 4)
	s_mul_i32 s2, ttmp9, s2
	s_delay_alu instid0(SALU_CYCLE_1) | instskip(SKIP_2) | instid1(SALU_CYCLE_1)
	s_add_co_i32 s3, s3, s2
	s_cmp_eq_u32 s20, 0
	s_cselect_b32 s28, ttmp9, s3
	s_abs_i32 s21, s28
	s_wait_kmcnt 0x0
	s_abs_i32 s2, s9
	s_delay_alu instid0(SALU_CYCLE_1) | instskip(SKIP_1) | instid1(SALU_CYCLE_2)
	s_cvt_f32_u32 s3, s2
	s_sub_co_i32 s20, 0, s2
	v_rcp_iflag_f32_e32 v1, s3
	v_nop
	s_delay_alu instid0(TRANS32_DEP_1) | instskip(SKIP_1) | instid1(SALU_CYCLE_3)
	v_readfirstlane_b32 s3, v1
	s_mul_f32 s3, s3, 0x4f7ffffe
	s_cvt_u32_f32 s3, s3
	s_delay_alu instid0(SALU_CYCLE_3) | instskip(NEXT) | instid1(SALU_CYCLE_1)
	s_mul_i32 s20, s20, s3
	s_mul_hi_u32 s20, s3, s20
	s_delay_alu instid0(SALU_CYCLE_1) | instskip(NEXT) | instid1(SALU_CYCLE_1)
	s_add_co_i32 s3, s3, s20
	s_mul_hi_u32 s3, s21, s3
	s_delay_alu instid0(SALU_CYCLE_1) | instskip(NEXT) | instid1(SALU_CYCLE_1)
	s_mul_i32 s20, s3, s2
	s_sub_co_i32 s20, s21, s20
	s_add_co_i32 s21, s3, 1
	s_sub_co_i32 s22, s20, s2
	s_cmp_ge_u32 s20, s2
	s_cselect_b32 s3, s21, s3
	s_cselect_b32 s20, s22, s20
	s_add_co_i32 s21, s3, 1
	s_cmp_ge_u32 s20, s2
	s_mov_b32 s20, exec_lo
	s_cselect_b32 s2, s21, s3
	s_abs_i32 s29, s6
	s_mul_i32 s6, s19, s7
	s_cvt_f32_u32 s3, s29
	s_mul_i32 s19, s6, s10
	s_delay_alu instid0(SALU_CYCLE_2) | instskip(SKIP_2) | instid1(TRANS32_DEP_1)
	v_rcp_iflag_f32_e32 v1, s3
	s_mov_b32 s3, 0
	v_nop
	v_readfirstlane_b32 s10, v1
	v_cmpx_gt_i32_e64 s19, v0
	s_cbranch_execz .LBB23_18
; %bb.1:
	s_mul_f32 s10, s10, 0x4f7ffffe
	s_xor_b32 s30, s28, s9
	s_sub_co_i32 s33, 0, s29
	s_ashr_i32 s30, s30, 31
	s_cvt_u32_f32 s10, s10
	s_xor_b32 s2, s2, s30
	s_mov_b32 s31, s3
	s_sub_co_i32 s36, s2, s30
	s_mul_i32 s33, s33, s10
	s_abs_i32 s2, s36
	s_mul_hi_u32 s30, s10, s33
	s_clause 0x1
	s_load_b64 s[34:35], s[0:1], 0x98
	s_load_b128 s[52:55], s[0:1], 0x88
	s_add_co_i32 s30, s10, s30
	s_ashr_i32 s33, s36, 31
	s_mul_u64 s[30:31], s[2:3], s[30:31]
	s_mul_i32 s36, s36, s9
	s_mul_i32 s10, s31, s29
	s_load_b256 s[20:27], s[0:1], 0x0
	s_sub_co_i32 s2, s2, s10
	s_sub_co_i32 s10, s28, s36
	;; [unrolled: 1-line block ×3, first 2 shown]
	s_cmp_ge_u32 s2, s29
	s_mul_i32 s30, s10, s11
	s_cselect_b32 s2, s9, s2
	s_load_b64 s[58:59], s[0:1], 0x20
	s_sub_co_i32 s9, s2, s29
	s_cmp_ge_u32 s2, s29
	s_load_b512 s[36:51], s[0:1], 0x28
	s_cselect_b32 s2, s9, s2
	s_ashr_i32 s11, s10, 31
	s_xor_b32 s2, s2, s33
	s_wait_kmcnt 0x0
	s_mul_u64 s[10:11], s[54:55], s[10:11]
	s_sub_co_i32 s60, s2, s33
	s_lshl_b64 s[10:11], s[10:11], 2
	s_ashr_i32 s61, s60, 31
	s_load_b32 s62, s[0:1], 0xec
	s_mul_u64 s[28:29], s[34:35], s[60:61]
	v_cmp_neq_f64_e64 s2, s[24:25], 1.0
	s_lshl_b64 s[34:35], s[28:29], 2
	s_cmp_lt_i32 s17, 1
	v_cmp_neq_f64_e64 s57, s[26:27], 0
	s_cselect_b32 s9, -1, 0
	s_sub_co_i32 s15, s30, s15
	s_cmp_gt_i32 s18, 0
	v_cvt_i32_f64_e32 v1, s[24:25]
	s_cselect_b32 s33, -1, 0
	s_cmp_gt_i32 s8, 0
	v_cvt_i32_f64_e32 v22, s[26:27]
	s_cselect_b32 s54, -1, 0
	s_abs_i32 s55, s6
	s_abs_i32 s56, s7
	s_cvt_f32_u32 s28, s55
	s_cvt_f32_u32 s29, s56
	s_mul_u64 s[60:61], s[44:45], s[60:61]
	s_ashr_i32 s44, s6, 31
	v_rcp_iflag_f32_e32 v2, s28
	v_rcp_iflag_f32_e32 v3, s29
	s_load_b256 s[24:31], s[0:1], 0x68
	s_wait_xcnt 0x0
	s_add_nc_u64 s[0:1], s[58:59], s[34:35]
	s_sub_co_i32 s58, 0, s56
	s_add_nc_u64 s[10:11], s[0:1], s[10:11]
	s_wait_kmcnt 0x0
	s_and_b32 s1, s62, 0xffff
	v_readfirstlane_b32 s34, v2
	v_readfirstlane_b32 s35, v3
	v_mov_b32_e32 v3, 0
	s_ashr_i32 s45, s7, 31
	s_add_nc_u64 s[20:21], s[20:21], s[60:61]
	s_mul_f32 s0, s34, 0x4f7ffffe
	s_mul_f32 s34, s35, 0x4f7ffffe
	s_sub_co_i32 s35, 0, s55
	s_delay_alu instid0(SALU_CYCLE_1) | instskip(NEXT) | instid1(SALU_CYCLE_1)
	s_cvt_u32_f32 s0, s0
	s_cvt_u32_f32 s34, s34
	s_or_b32 s57, s2, s57
	s_delay_alu instid0(SALU_CYCLE_1) | instskip(NEXT) | instid1(SALU_CYCLE_1)
	s_mul_i32 s35, s35, s0
	s_mul_i32 s58, s58, s34
	s_mul_hi_u32 s2, s0, s35
	s_mul_hi_u32 s35, s34, s58
	s_add_co_i32 s2, s0, s2
	s_add_co_i32 s34, s34, s35
	s_mov_b32 s35, s3
	s_mov_b32 s58, s3
	s_branch .LBB23_3
.LBB23_2:                               ;   in Loop: Header=BB23_3 Depth=1
	v_add_nc_u32_e32 v0, s1, v0
	s_delay_alu instid0(VALU_DEP_2) | instskip(NEXT) | instid1(VALU_DEP_2)
	v_cvt_f32_i32_e32 v2, v2
	v_cmp_le_i32_e32 vcc_lo, s19, v0
	global_store_b32 v[4:5], v2, off
	s_or_b32 s58, vcc_lo, s58
	s_wait_xcnt 0x0
	s_and_not1_b32 exec_lo, exec_lo, s58
	s_cbranch_execz .LBB23_18
.LBB23_3:                               ; =>This Loop Header: Depth=1
                                        ;     Child Loop BB23_8 Depth 2
                                        ;       Child Loop BB23_11 Depth 3
                                        ;         Child Loop BB23_14 Depth 4
	v_sub_nc_u32_e32 v2, 0, v0
	s_mov_b32 s0, -1
	s_delay_alu instid0(VALU_DEP_1) | instskip(NEXT) | instid1(VALU_DEP_1)
	v_max_i32_e32 v2, v0, v2
	v_mul_u64_e32 v[4:5], s[2:3], v[2:3]
	s_delay_alu instid0(VALU_DEP_1) | instskip(NEXT) | instid1(VALU_DEP_1)
	v_mul_lo_u32 v4, v5, s55
	v_dual_sub_nc_u32 v2, v2, v4 :: v_dual_add_nc_u32 v4, 1, v5
	s_delay_alu instid0(VALU_DEP_1) | instskip(SKIP_1) | instid1(VALU_DEP_3)
	v_subrev_nc_u32_e32 v6, s55, v2
	v_cmp_le_u32_e32 vcc_lo, s55, v2
	v_cndmask_b32_e32 v4, v5, v4, vcc_lo
	s_delay_alu instid0(VALU_DEP_3) | instskip(NEXT) | instid1(VALU_DEP_2)
	v_dual_cndmask_b32 v2, v2, v6 :: v_dual_ashrrev_i32 v5, 31, v0
	v_add_nc_u32_e32 v6, 1, v4
	s_delay_alu instid0(VALU_DEP_2) | instskip(NEXT) | instid1(VALU_DEP_2)
	v_cmp_le_u32_e32 vcc_lo, s55, v2
	v_dual_cndmask_b32 v2, v4, v6, vcc_lo :: v_dual_bitop2_b32 v5, s44, v5 bitop3:0x14
	s_delay_alu instid0(VALU_DEP_1) | instskip(NEXT) | instid1(VALU_DEP_1)
	v_xor_b32_e32 v2, v2, v5
	v_sub_nc_u32_e32 v4, v2, v5
	s_delay_alu instid0(VALU_DEP_1) | instskip(NEXT) | instid1(VALU_DEP_1)
	v_mul_lo_u32 v2, v4, s6
	v_sub_nc_u32_e32 v10, v0, v2
	s_delay_alu instid0(VALU_DEP_1) | instskip(NEXT) | instid1(VALU_DEP_1)
	v_dual_sub_nc_u32 v2, 0, v10 :: v_dual_ashrrev_i32 v11, 31, v10
	v_max_i32_e32 v2, v10, v2
	s_delay_alu instid0(VALU_DEP_1) | instskip(NEXT) | instid1(VALU_DEP_1)
	v_mul_u64_e32 v[6:7], s[34:35], v[2:3]
	v_mul_lo_u32 v5, v7, s56
	s_delay_alu instid0(VALU_DEP_1) | instskip(NEXT) | instid1(VALU_DEP_1)
	v_dual_sub_nc_u32 v2, v2, v5 :: v_dual_add_nc_u32 v5, 1, v7
	v_subrev_nc_u32_e32 v6, s56, v2
	v_cmp_le_u32_e32 vcc_lo, s56, v2
	s_delay_alu instid0(VALU_DEP_2) | instskip(NEXT) | instid1(VALU_DEP_1)
	v_dual_cndmask_b32 v5, v7, v5 :: v_dual_cndmask_b32 v2, v2, v6
	v_dual_add_nc_u32 v6, 1, v5 :: v_dual_bitop2_b32 v7, s45, v11 bitop3:0x14
	s_delay_alu instid0(VALU_DEP_2) | instskip(NEXT) | instid1(VALU_DEP_2)
	v_cmp_le_u32_e32 vcc_lo, s56, v2
	v_cndmask_b32_e32 v2, v5, v6, vcc_lo
	s_and_not1_b32 vcc_lo, exec_lo, s9
	s_delay_alu instid0(VALU_DEP_1) | instskip(NEXT) | instid1(VALU_DEP_1)
	v_xor_b32_e32 v2, v2, v7
	v_sub_nc_u32_e32 v8, v2, v7
	s_delay_alu instid0(VALU_DEP_1) | instskip(NEXT) | instid1(VALU_DEP_1)
	v_mul_lo_u32 v12, v8, s7
	v_sub_nc_u32_e32 v6, v10, v12
	s_delay_alu instid0(VALU_DEP_1)
	v_dual_ashrrev_i32 v7, 31, v6 :: v_dual_ashrrev_i32 v9, 31, v8
	s_cbranch_vccnz .LBB23_5
; %bb.4:                                ;   in Loop: Header=BB23_3 Depth=1
	s_mov_b32 s0, 0
.LBB23_5:                               ;   in Loop: Header=BB23_3 Depth=1
	v_mov_b32_e32 v2, 0
	s_and_not1_b32 vcc_lo, exec_lo, s0
	s_cbranch_vccnz .LBB23_16
; %bb.6:                                ;   in Loop: Header=BB23_3 Depth=1
	v_mul_u64_e32 v[14:15], s[26:27], v[8:9]
	v_ashrrev_i32_e32 v13, 31, v12
	s_mov_b32 s59, 0
	s_mov_b32 s60, s15
	s_delay_alu instid0(VALU_DEP_1) | instskip(SKIP_1) | instid1(VALU_DEP_1)
	v_sub_nc_u64_e32 v[12:13], v[10:11], v[12:13]
	v_mad_nc_u64_u32 v[10:11], s38, v8, s[20:21]
	v_mad_u32 v5, s39, v8, v11
	s_delay_alu instid0(VALU_DEP_1) | instskip(NEXT) | instid1(VALU_DEP_4)
	v_mad_u32 v11, s38, v9, v5
	v_mad_nc_u64_u32 v[14:15], s24, v12, v[14:15]
	s_delay_alu instid0(VALU_DEP_1) | instskip(NEXT) | instid1(VALU_DEP_1)
	v_mad_u32 v2, s25, v12, v15
	v_mad_u32 v15, s24, v13, v2
	v_mul_lo_u32 v2, v4, s12
	s_delay_alu instid0(VALU_DEP_2) | instskip(NEXT) | instid1(VALU_DEP_2)
	v_add_nc_u64_e32 v[12:13], s[22:23], v[14:15]
	v_subrev_nc_u32_e32 v5, s16, v2
	v_mov_b32_e32 v2, 0
	s_branch .LBB23_8
.LBB23_7:                               ;   in Loop: Header=BB23_8 Depth=2
	s_delay_alu instid0(VALU_DEP_1)
	v_add_nc_u64_e32 v[12:13], s[50:51], v[12:13]
	s_add_co_i32 s59, s59, 1
	s_add_co_i32 s60, s60, s13
	s_cmp_eq_u32 s59, s17
	s_cbranch_scc1 .LBB23_16
.LBB23_8:                               ;   Parent Loop BB23_3 Depth=1
                                        ; =>  This Loop Header: Depth=2
                                        ;       Child Loop BB23_11 Depth 3
                                        ;         Child Loop BB23_14 Depth 4
	s_and_not1_b32 vcc_lo, exec_lo, s33
	s_cbranch_vccnz .LBB23_7
; %bb.9:                                ;   in Loop: Header=BB23_8 Depth=2
	v_mad_nc_u64_u32 v[14:15], s42, s60, v[10:11]
	s_mul_i32 s0, s59, s13
	v_mov_b64_e32 v[16:17], v[12:13]
	s_add_co_i32 s0, s0, s15
	v_mov_b32_e32 v23, v5
	s_cmp_lt_i32 s0, 0
	s_mov_b32 s61, 0
	s_cselect_b32 s62, -1, 0
	s_cmp_ge_i32 s0, s4
	s_cselect_b32 s0, -1, 0
	s_delay_alu instid0(VALU_DEP_3)
	v_mad_u32 v15, s43, s60, v15
	s_or_b32 s62, s62, s0
	s_branch .LBB23_11
.LBB23_10:                              ;   in Loop: Header=BB23_11 Depth=3
	v_add_nc_u64_e32 v[16:17], s[48:49], v[16:17]
	v_add_nc_u32_e32 v23, s14, v23
	s_add_co_i32 s61, s61, 1
	s_delay_alu instid0(SALU_CYCLE_1)
	s_cmp_eq_u32 s61, s18
	s_cbranch_scc1 .LBB23_7
.LBB23_11:                              ;   Parent Loop BB23_3 Depth=1
                                        ;     Parent Loop BB23_8 Depth=2
                                        ; =>    This Loop Header: Depth=3
                                        ;         Child Loop BB23_14 Depth 4
	s_and_not1_b32 vcc_lo, exec_lo, s54
	s_cbranch_vccnz .LBB23_10
; %bb.12:                               ;   in Loop: Header=BB23_11 Depth=3
	s_delay_alu instid0(VALU_DEP_1) | instskip(SKIP_2) | instid1(VALU_DEP_2)
	v_mad_nc_u64_u32 v[18:19], s40, v23, v[14:15]
	v_mad_u32 v20, s61, s14, v5
	s_mov_b32 s63, s8
	v_mad_u32 v19, s41, v23, v19
	s_delay_alu instid0(VALU_DEP_2) | instskip(SKIP_3) | instid1(SALU_CYCLE_1)
	v_cmp_gt_i32_e32 vcc_lo, 0, v20
	v_cmp_le_i32_e64 s0, s5, v20
	v_mov_b64_e32 v[20:21], v[16:17]
	s_or_b32 s0, vcc_lo, s0
	s_nor_b32 s0, s62, s0
	s_branch .LBB23_14
.LBB23_13:                              ;   in Loop: Header=BB23_14 Depth=4
	s_wait_xcnt 0x0
	s_or_b32 exec_lo, exec_lo, s64
	v_add_nc_u64_e32 v[20:21], s[46:47], v[20:21]
	v_add_nc_u64_e32 v[18:19], s[36:37], v[18:19]
	s_add_co_i32 s63, s63, -1
	s_delay_alu instid0(SALU_CYCLE_1)
	s_cmp_eq_u32 s63, 0
	s_cbranch_scc1 .LBB23_10
.LBB23_14:                              ;   Parent Loop BB23_3 Depth=1
                                        ;     Parent Loop BB23_8 Depth=2
                                        ;       Parent Loop BB23_11 Depth=3
                                        ; =>      This Inner Loop Header: Depth=4
	s_and_saveexec_b32 s64, s0
	s_cbranch_execz .LBB23_13
; %bb.15:                               ;   in Loop: Header=BB23_14 Depth=4
	global_load_i8 v24, v[18:19], off
	global_load_i8 v25, v[20:21], off
	s_wait_loadcnt 0x0
	v_mad_i32_i24 v2, v25, v24, v2
	s_branch .LBB23_13
.LBB23_16:                              ;   in Loop: Header=BB23_3 Depth=1
	v_ashrrev_i32_e32 v5, 31, v4
	v_mul_u64_e32 v[8:9], s[30:31], v[8:9]
	v_mul_u64_e32 v[6:7], s[28:29], v[6:7]
	s_and_not1_b32 vcc_lo, exec_lo, s57
	s_delay_alu instid0(VALU_DEP_3) | instskip(NEXT) | instid1(VALU_DEP_3)
	v_mul_u64_e32 v[4:5], s[52:53], v[4:5]
	v_lshl_add_u64 v[8:9], v[8:9], 2, s[10:11]
	s_delay_alu instid0(VALU_DEP_1) | instskip(NEXT) | instid1(VALU_DEP_1)
	v_lshl_add_u64 v[4:5], v[4:5], 2, v[8:9]
	v_lshl_add_u64 v[4:5], v[6:7], 2, v[4:5]
	s_cbranch_vccnz .LBB23_2
; %bb.17:                               ;   in Loop: Header=BB23_3 Depth=1
	global_load_b32 v6, v[4:5], off
	v_mul_lo_u32 v2, v2, v1
	s_wait_loadcnt 0x0
	v_cvt_i32_f32_e32 v6, v6
	s_delay_alu instid0(VALU_DEP_1)
	v_mad_u32 v2, v6, v22, v2
	s_branch .LBB23_2
.LBB23_18:
	s_endpgm
	.section	.rodata,"a",@progbits
	.p2align	6, 0x0
	.amdhsa_kernel naive_conv_ab_nonpacked_fwd_nhwc_int8_t_int32_t_float
		.amdhsa_group_segment_fixed_size 0
		.amdhsa_private_segment_fixed_size 0
		.amdhsa_kernarg_size 480
		.amdhsa_user_sgpr_count 2
		.amdhsa_user_sgpr_dispatch_ptr 0
		.amdhsa_user_sgpr_queue_ptr 0
		.amdhsa_user_sgpr_kernarg_segment_ptr 1
		.amdhsa_user_sgpr_dispatch_id 0
		.amdhsa_user_sgpr_kernarg_preload_length 0
		.amdhsa_user_sgpr_kernarg_preload_offset 0
		.amdhsa_user_sgpr_private_segment_size 0
		.amdhsa_wavefront_size32 1
		.amdhsa_uses_dynamic_stack 0
		.amdhsa_enable_private_segment 0
		.amdhsa_system_sgpr_workgroup_id_x 1
		.amdhsa_system_sgpr_workgroup_id_y 0
		.amdhsa_system_sgpr_workgroup_id_z 0
		.amdhsa_system_sgpr_workgroup_info 0
		.amdhsa_system_vgpr_workitem_id 0
		.amdhsa_next_free_vgpr 26
		.amdhsa_next_free_sgpr 65
		.amdhsa_named_barrier_count 0
		.amdhsa_reserve_vcc 1
		.amdhsa_float_round_mode_32 0
		.amdhsa_float_round_mode_16_64 0
		.amdhsa_float_denorm_mode_32 3
		.amdhsa_float_denorm_mode_16_64 3
		.amdhsa_fp16_overflow 0
		.amdhsa_memory_ordered 1
		.amdhsa_forward_progress 1
		.amdhsa_inst_pref_size 12
		.amdhsa_round_robin_scheduling 0
		.amdhsa_exception_fp_ieee_invalid_op 0
		.amdhsa_exception_fp_denorm_src 0
		.amdhsa_exception_fp_ieee_div_zero 0
		.amdhsa_exception_fp_ieee_overflow 0
		.amdhsa_exception_fp_ieee_underflow 0
		.amdhsa_exception_fp_ieee_inexact 0
		.amdhsa_exception_int_div_zero 0
	.end_amdhsa_kernel
	.text
.Lfunc_end23:
	.size	naive_conv_ab_nonpacked_fwd_nhwc_int8_t_int32_t_float, .Lfunc_end23-naive_conv_ab_nonpacked_fwd_nhwc_int8_t_int32_t_float
                                        ; -- End function
	.set naive_conv_ab_nonpacked_fwd_nhwc_int8_t_int32_t_float.num_vgpr, 26
	.set naive_conv_ab_nonpacked_fwd_nhwc_int8_t_int32_t_float.num_agpr, 0
	.set naive_conv_ab_nonpacked_fwd_nhwc_int8_t_int32_t_float.numbered_sgpr, 65
	.set naive_conv_ab_nonpacked_fwd_nhwc_int8_t_int32_t_float.num_named_barrier, 0
	.set naive_conv_ab_nonpacked_fwd_nhwc_int8_t_int32_t_float.private_seg_size, 0
	.set naive_conv_ab_nonpacked_fwd_nhwc_int8_t_int32_t_float.uses_vcc, 1
	.set naive_conv_ab_nonpacked_fwd_nhwc_int8_t_int32_t_float.uses_flat_scratch, 0
	.set naive_conv_ab_nonpacked_fwd_nhwc_int8_t_int32_t_float.has_dyn_sized_stack, 0
	.set naive_conv_ab_nonpacked_fwd_nhwc_int8_t_int32_t_float.has_recursion, 0
	.set naive_conv_ab_nonpacked_fwd_nhwc_int8_t_int32_t_float.has_indirect_call, 0
	.section	.AMDGPU.csdata,"",@progbits
; Kernel info:
; codeLenInByte = 1444
; TotalNumSgprs: 67
; NumVgprs: 26
; ScratchSize: 0
; MemoryBound: 0
; FloatMode: 240
; IeeeMode: 1
; LDSByteSize: 0 bytes/workgroup (compile time only)
; SGPRBlocks: 0
; VGPRBlocks: 1
; NumSGPRsForWavesPerEU: 67
; NumVGPRsForWavesPerEU: 26
; NamedBarCnt: 0
; Occupancy: 16
; WaveLimiterHint : 0
; COMPUTE_PGM_RSRC2:SCRATCH_EN: 0
; COMPUTE_PGM_RSRC2:USER_SGPR: 2
; COMPUTE_PGM_RSRC2:TRAP_HANDLER: 0
; COMPUTE_PGM_RSRC2:TGID_X_EN: 1
; COMPUTE_PGM_RSRC2:TGID_Y_EN: 0
; COMPUTE_PGM_RSRC2:TGID_Z_EN: 0
; COMPUTE_PGM_RSRC2:TIDIG_COMP_CNT: 0
	.text
	.protected	naive_conv_ab_packed_bwd_nchw_float_double_float ; -- Begin function naive_conv_ab_packed_bwd_nchw_float_double_float
	.globl	naive_conv_ab_packed_bwd_nchw_float_double_float
	.p2align	8
	.type	naive_conv_ab_packed_bwd_nchw_float_double_float,@function
naive_conv_ab_packed_bwd_nchw_float_double_float: ; @naive_conv_ab_packed_bwd_nchw_float_double_float
; %bb.0:
	s_load_b512 s[4:19], s[0:1], 0xa0
	s_bfe_u32 s2, ttmp6, 0x4000c
	s_and_b32 s3, ttmp6, 15
	s_add_co_i32 s2, s2, 1
	s_getreg_b32 s20, hwreg(HW_REG_IB_STS2, 6, 4)
	s_mul_i32 s2, ttmp9, s2
	s_mov_b32 s27, exec_lo
	s_add_co_i32 s3, s3, s2
	s_cmp_eq_u32 s20, 0
	s_cselect_b32 s20, ttmp9, s3
	s_wait_kmcnt 0x0
	s_abs_i32 s3, s8
	s_delay_alu instid0(SALU_CYCLE_1) | instskip(NEXT) | instid1(SALU_CYCLE_3)
	s_cvt_f32_u32 s2, s3
	v_rcp_iflag_f32_e32 v1, s2
	v_nop
	s_delay_alu instid0(TRANS32_DEP_1) | instskip(SKIP_1) | instid1(SALU_CYCLE_3)
	v_readfirstlane_b32 s2, v1
	s_mul_f32 s2, s2, 0x4f7ffffe
	s_cvt_u32_f32 s21, s2
	s_sub_co_i32 s2, 0, s3
	s_delay_alu instid0(SALU_CYCLE_2) | instskip(NEXT) | instid1(SALU_CYCLE_1)
	s_mul_i32 s2, s2, s21
	s_mul_hi_u32 s22, s21, s2
	s_abs_i32 s2, s20
	s_add_co_i32 s21, s21, s22
	s_delay_alu instid0(SALU_CYCLE_1) | instskip(NEXT) | instid1(SALU_CYCLE_1)
	s_mul_hi_u32 s21, s2, s21
	s_mul_i32 s22, s21, s3
	s_add_co_i32 s23, s21, 1
	s_sub_co_i32 s22, s2, s22
	s_delay_alu instid0(SALU_CYCLE_1)
	s_sub_co_i32 s24, s22, s3
	s_cmp_ge_u32 s22, s3
	s_cselect_b32 s21, s23, s21
	s_cselect_b32 s22, s24, s22
	s_add_co_i32 s24, s21, 1
	s_cmp_ge_u32 s22, s3
	s_mul_i32 s23, s8, s6
	s_cselect_b32 s25, s24, s21
	s_abs_i32 s22, s6
	s_abs_i32 s21, s23
	s_cvt_f32_u32 s3, s22
	s_cvt_f32_u32 s6, s21
	s_delay_alu instid0(SALU_CYCLE_2) | instskip(NEXT) | instid1(SALU_CYCLE_2)
	v_rcp_iflag_f32_e32 v1, s3
	v_rcp_iflag_f32_e32 v2, s6
	s_mul_i32 s6, s5, s4
	s_mov_b32 s3, 0
	s_delay_alu instid0(TRANS32_DEP_2) | instskip(NEXT) | instid1(TRANS32_DEP_1)
	v_readfirstlane_b32 s26, v1
	v_readfirstlane_b32 s24, v2
	v_cmpx_gt_i32_e64 s6, v0
	s_cbranch_execz .LBB24_28
; %bb.1:
	s_ashr_i32 s28, s20, 31
	s_ashr_i32 s39, s8, 31
	s_mul_f32 s26, s26, 0x4f7ffffe
	s_xor_b32 s27, s28, s39
	s_sub_co_i32 s33, 0, s21
	s_xor_b32 s25, s25, s27
	s_cvt_u32_f32 s26, s26
	s_sub_co_i32 s29, s25, s27
	s_sub_co_i32 s25, 0, s22
	s_mul_f32 s27, s24, 0x4f7ffffe
	s_mul_i32 s25, s25, s26
	s_abs_i32 s24, s29
	s_mul_hi_u32 s25, s26, s25
	s_cvt_u32_f32 s31, s27
	s_add_co_i32 s26, s26, s25
	s_mov_b32 s25, s3
	s_mov_b32 s27, s3
	s_mul_i32 s33, s33, s31
	s_mul_u64 s[26:27], s[24:25], s[26:27]
	s_mul_hi_u32 s25, s31, s33
	s_ashr_i32 s33, s23, 31
	s_mul_i32 s23, s27, s22
	s_ashr_i32 s30, s29, 31
	s_mul_i32 s29, s29, s8
	s_sub_co_i32 s23, s24, s23
	s_add_co_i32 s26, s31, s25
	s_sub_co_i32 s36, s20, s29
	s_sub_co_i32 s20, s23, s22
	s_cmp_ge_u32 s23, s22
	s_mov_b32 s27, s3
	s_cselect_b32 s20, s20, s23
	s_mov_b32 s38, s8
	s_sub_co_i32 s23, s20, s22
	s_cmp_ge_u32 s20, s22
	s_mov_b32 s42, s4
	s_cselect_b32 s20, s23, s20
	s_mul_u64 s[22:23], s[2:3], s[26:27]
	s_xor_b32 s20, s20, s30
	s_xor_b32 s33, s28, s33
	s_sub_co_i32 s30, s20, s30
	s_mul_i32 s20, s23, s21
	v_mov_b32_e32 v3, 0
	s_sub_co_i32 s2, s2, s20
	s_add_co_i32 s20, s23, 1
	s_sub_co_i32 s22, s2, s21
	s_cmp_ge_u32 s2, s21
	s_load_b32 s48, s[0:1], 0xec
	s_cselect_b32 s28, s20, s23
	s_cselect_b32 s2, s22, s2
	s_add_co_i32 s29, s28, 1
	s_cmp_ge_u32 s2, s21
	s_load_b256 s[20:27], s[0:1], 0x0
	s_cselect_b32 s2, s29, s28
	s_mul_i32 s28, s19, s8
	s_xor_b32 s2, s2, s33
	s_ashr_i32 s31, s30, 31
	s_ashr_i32 s29, s28, 31
	s_sub_co_i32 s34, s2, s33
	s_mul_u64 s[40:41], s[30:31], s[28:29]
	s_ashr_i32 s35, s34, 31
	s_ashr_i32 s37, s36, 31
	;; [unrolled: 1-line block ×4, first 2 shown]
	s_mul_u64 s[44:45], s[34:35], s[38:39]
	s_add_nc_u64 s[40:41], s[40:41], s[36:37]
	s_mov_b32 s28, s5
	s_add_nc_u64 s[40:41], s[40:41], s[44:45]
	s_mul_u64 s[42:43], s[28:29], s[42:43]
	s_ashr_i32 s45, s7, 31
	s_mul_u64 s[40:41], s[42:43], s[40:41]
	s_mul_i32 s42, s19, s7
	s_mov_b32 s44, s7
	s_ashr_i32 s43, s42, 31
	s_mul_u64 s[44:45], s[34:35], s[44:45]
	s_mul_u64 s[34:35], s[30:31], s[42:43]
	s_ashr_i32 s31, s9, 31
	s_mov_b32 s30, s9
	s_ashr_i32 s9, s10, 31
	s_mov_b32 s8, s10
	s_add_nc_u64 s[42:43], s[44:45], s[34:35]
	s_mul_u64 s[46:47], s[8:9], s[30:31]
	s_wait_kmcnt 0x0
	v_cmp_neq_f64_e64 s2, s[24:25], 1.0
	s_mul_u64 s[42:43], s[46:47], s[42:43]
	v_cmp_neq_f64_e64 s10, s[26:27], 0
	s_lshl_b64 s[40:41], s[40:41], 2
	s_ashr_i32 s35, s17, 31
	s_ashr_i32 s19, s18, 31
	s_lshl_b64 s[42:43], s[42:43], 2
	s_cmp_gt_i32 s7, 0
	s_load_b64 s[46:47], s[0:1], 0x20
	s_cselect_b32 s33, -1, 0
	s_cmp_gt_i32 s17, 0
	s_wait_xcnt 0x0
	s_add_nc_u64 s[0:1], s[20:21], s[40:41]
	s_cselect_b32 s50, -1, 0
	s_cmp_gt_i32 s18, 0
	s_mov_b32 s34, s17
	s_cselect_b32 s51, -1, 0
	s_abs_i32 s52, s5
	s_abs_i32 s53, s11
	s_cvt_f32_u32 s4, s52
	s_abs_i32 s17, s12
	s_mul_u64 s[40:41], s[44:45], s[38:39]
	s_cvt_f32_u32 s21, s17
	v_rcp_iflag_f32_e32 v1, s4
	s_cvt_f32_u32 s4, s53
	s_add_nc_u64 s[36:37], s[40:41], s[36:37]
	s_mul_u64 s[40:41], s[18:19], s[34:35]
	s_and_b32 s55, s48, 0xffff
	s_mul_u64 s[38:39], s[40:41], s[38:39]
	s_ashr_i32 s56, s11, 31
	v_nop
	v_readfirstlane_b32 s20, v1
	v_rcp_iflag_f32_e32 v1, s4
	s_wait_kmcnt 0x0
	s_add_nc_u64 s[4:5], s[46:47], s[42:43]
	s_mov_b32 s11, s3
	s_ashr_i32 s12, s12, 31
	s_mul_f32 s20, s20, 0x4f7ffffe
	s_or_b32 s54, s2, s10
	s_sub_co_i32 s10, 0, s52
	v_nop
	v_readfirstlane_b32 s42, v1
	v_rcp_iflag_f32_e32 v1, s21
	s_cvt_u32_f32 s2, s20
	s_mov_b32 s21, s3
	s_lshl_b64 s[38:39], s[38:39], 2
	s_mul_f32 s20, s42, 0x4f7ffffe
	s_mul_i32 s10, s10, s2
	v_nop
	v_readfirstlane_b32 s43, v1
	s_mul_hi_u32 s10, s2, s10
	s_cvt_u32_f32 s42, s20
	s_add_co_i32 s20, s2, s10
	s_sub_co_i32 s2, 0, s53
	s_mul_f32 s43, s43, 0x4f7ffffe
	s_mul_i32 s2, s2, s42
	s_delay_alu instid0(SALU_CYCLE_1) | instskip(NEXT) | instid1(SALU_CYCLE_1)
	s_mul_hi_u32 s2, s42, s2
	s_add_co_i32 s10, s42, s2
	s_cvt_u32_f32 s2, s43
	s_sub_co_i32 s42, 0, s17
	s_delay_alu instid0(SALU_CYCLE_2) | instskip(NEXT) | instid1(SALU_CYCLE_1)
	s_mul_i32 s42, s42, s2
	s_mul_hi_u32 s35, s2, s42
	s_mul_u64 s[42:43], s[40:41], s[36:37]
	s_add_co_i32 s36, s2, s35
	s_lshl_b64 s[42:43], s[42:43], 2
	s_mov_b32 s37, s3
	s_add_nc_u64 s[22:23], s[22:23], s[42:43]
	s_lshl_b64 s[40:41], s[18:19], 2
	s_mov_b32 s19, 0
	s_branch .LBB24_3
.LBB24_2:                               ;   in Loop: Header=BB24_3 Depth=1
	s_delay_alu instid0(VALU_DEP_1) | instskip(SKIP_1) | instid1(VALU_DEP_1)
	v_cvt_f32_f64_e32 v1, v[4:5]
	v_add_nc_u32_e32 v0, s55, v0
	v_cmp_le_i32_e32 vcc_lo, s6, v0
	s_or_b32 s19, vcc_lo, s19
	global_store_b32 v[6:7], v1, off
	s_wait_xcnt 0x0
	s_and_not1_b32 exec_lo, exec_lo, s19
	s_cbranch_execz .LBB24_28
.LBB24_3:                               ; =>This Loop Header: Depth=1
                                        ;     Child Loop BB24_6 Depth 2
                                        ;       Child Loop BB24_9 Depth 3
                                        ;         Child Loop BB24_18 Depth 4
	v_sub_nc_u32_e32 v1, 0, v0
	s_delay_alu instid0(VALU_DEP_1) | instskip(NEXT) | instid1(VALU_DEP_1)
	v_max_i32_e32 v2, v0, v1
	v_mul_u64_e32 v[4:5], s[20:21], v[2:3]
	s_delay_alu instid0(VALU_DEP_1) | instskip(NEXT) | instid1(VALU_DEP_1)
	v_mul_lo_u32 v1, v5, s52
	v_sub_nc_u32_e32 v1, v2, v1
	v_add_nc_u32_e32 v2, 1, v5
	s_delay_alu instid0(VALU_DEP_2) | instskip(NEXT) | instid1(VALU_DEP_2)
	v_cmp_le_u32_e32 vcc_lo, s52, v1
	v_cndmask_b32_e32 v2, v5, v2, vcc_lo
	v_subrev_nc_u32_e32 v4, s52, v1
	v_ashrrev_i32_e32 v5, 31, v0
	s_delay_alu instid0(VALU_DEP_2) | instskip(NEXT) | instid1(VALU_DEP_1)
	v_dual_cndmask_b32 v1, v1, v4 :: v_dual_add_nc_u32 v4, 1, v2
	v_cmp_le_u32_e32 vcc_lo, s52, v1
	s_delay_alu instid0(VALU_DEP_2) | instskip(SKIP_1) | instid1(VALU_DEP_1)
	v_dual_cndmask_b32 v1, v2, v4, vcc_lo :: v_dual_bitop2_b32 v5, s29, v5 bitop3:0x14
	s_and_not1_b32 vcc_lo, exec_lo, s33
	v_xor_b32_e32 v1, v1, v5
	s_delay_alu instid0(VALU_DEP_1) | instskip(SKIP_1) | instid1(VALU_DEP_2)
	v_sub_nc_u32_e32 v8, v1, v5
	v_mov_b64_e32 v[4:5], 0
	v_mul_lo_u32 v1, v8, s28
	s_delay_alu instid0(VALU_DEP_1)
	v_sub_nc_u32_e32 v6, v0, v1
	s_cbranch_vccnz .LBB24_26
; %bb.4:                                ;   in Loop: Header=BB24_3 Depth=1
	s_delay_alu instid0(VALU_DEP_1)
	v_dual_add_nc_u32 v1, s15, v8 :: v_dual_add_nc_u32 v7, s16, v6
	s_mov_b32 s2, 0
	s_mov_b64 s[42:43], s[22:23]
	s_branch .LBB24_6
.LBB24_5:                               ;   in Loop: Header=BB24_6 Depth=2
	s_add_co_i32 s2, s2, 1
	s_add_nc_u64 s[42:43], s[42:43], s[38:39]
	s_cmp_eq_u32 s2, s7
	s_cbranch_scc1 .LBB24_26
.LBB24_6:                               ;   Parent Loop BB24_3 Depth=1
                                        ; =>  This Loop Header: Depth=2
                                        ;       Child Loop BB24_9 Depth 3
                                        ;         Child Loop BB24_18 Depth 4
	s_and_not1_b32 vcc_lo, exec_lo, s50
	s_cbranch_vccnz .LBB24_5
; %bb.7:                                ;   in Loop: Header=BB24_6 Depth=2
	s_mul_u64 s[44:45], s[2:3], s[30:31]
	s_mov_b32 s35, 0
	s_mov_b64 s[46:47], s[42:43]
	s_branch .LBB24_9
.LBB24_8:                               ;   in Loop: Header=BB24_9 Depth=3
	s_add_co_i32 s35, s35, 1
	s_add_nc_u64 s[46:47], s[46:47], s[40:41]
	s_cmp_eq_u32 s35, s34
	s_cbranch_scc1 .LBB24_5
.LBB24_9:                               ;   Parent Loop BB24_3 Depth=1
                                        ;     Parent Loop BB24_6 Depth=2
                                        ; =>    This Loop Header: Depth=3
                                        ;         Child Loop BB24_18 Depth 4
	s_mul_i32 s48, s13, s35
	s_mov_b32 s49, exec_lo
	v_subrev_nc_u32_e32 v12, s48, v1
	s_mov_b32 s48, 0
                                        ; implicit-def: $vgpr9
                                        ; implicit-def: $vgpr11
                                        ; implicit-def: $vgpr2
                                        ; implicit-def: $vgpr10
	s_delay_alu instid0(VALU_DEP_1)
	v_cmpx_lt_i32_e32 -1, v12
	s_xor_b32 s49, exec_lo, s49
	s_cbranch_execnz .LBB24_13
; %bb.10:                               ;   in Loop: Header=BB24_9 Depth=3
	s_and_not1_saveexec_b32 s49, s49
	s_cbranch_execnz .LBB24_14
.LBB24_11:                              ;   in Loop: Header=BB24_9 Depth=3
	s_or_b32 exec_lo, exec_lo, s49
	v_mov_b32_e32 v12, 1
	s_and_saveexec_b32 s49, s48
	s_cbranch_execnz .LBB24_15
.LBB24_12:                              ;   in Loop: Header=BB24_9 Depth=3
	s_or_b32 exec_lo, exec_lo, s49
	s_delay_alu instid0(SALU_CYCLE_1)
	s_and_not1_b32 vcc_lo, exec_lo, s51
	s_cbranch_vccz .LBB24_16
	s_branch .LBB24_8
.LBB24_13:                              ;   in Loop: Header=BB24_9 Depth=3
	v_sub_nc_u32_e32 v2, 0, v12
	s_delay_alu instid0(VALU_DEP_1) | instskip(NEXT) | instid1(VALU_DEP_1)
	v_max_i32_e32 v2, v12, v2
	v_mul_u64_e32 v[10:11], s[10:11], v[2:3]
	s_delay_alu instid0(VALU_DEP_1) | instskip(NEXT) | instid1(VALU_DEP_1)
	v_mul_lo_u32 v9, v11, s53
	v_dual_sub_nc_u32 v2, v2, v9 :: v_dual_ashrrev_i32 v9, 31, v12
	s_delay_alu instid0(VALU_DEP_1) | instskip(SKIP_1) | instid1(VALU_DEP_2)
	v_subrev_nc_u32_e32 v10, s53, v2
	v_cmp_le_u32_e32 vcc_lo, s53, v2
	v_cndmask_b32_e32 v13, v2, v10, vcc_lo
	s_delay_alu instid0(VALU_DEP_1) | instskip(SKIP_1) | instid1(VALU_DEP_2)
	v_subrev_nc_u32_e32 v14, s53, v13
	v_cmp_le_u32_e32 vcc_lo, s53, v13
	v_cndmask_b32_e32 v12, v13, v14, vcc_lo
	s_delay_alu instid0(VALU_DEP_1) | instskip(NEXT) | instid1(VALU_DEP_1)
	v_xor_b32_e32 v12, v12, v9
	v_sub_nc_u32_e32 v12, v12, v9
	s_delay_alu instid0(VALU_DEP_1)
	v_cmp_ne_u32_e32 vcc_lo, 0, v12
                                        ; implicit-def: $vgpr12
	s_and_b32 s48, vcc_lo, exec_lo
	s_and_not1_saveexec_b32 s49, s49
	s_cbranch_execz .LBB24_11
.LBB24_14:                              ;   in Loop: Header=BB24_9 Depth=3
	v_sub_nc_u32_e32 v2, 0, v12
	s_or_b32 s48, s48, exec_lo
	s_delay_alu instid0(VALU_DEP_1) | instskip(NEXT) | instid1(VALU_DEP_1)
	v_max_i32_e32 v2, v12, v2
	v_mul_u64_e32 v[10:11], s[10:11], v[2:3]
	s_delay_alu instid0(VALU_DEP_1) | instskip(NEXT) | instid1(VALU_DEP_1)
	v_mul_lo_u32 v9, v11, s53
	v_dual_sub_nc_u32 v2, v2, v9 :: v_dual_ashrrev_i32 v9, 31, v12
	s_delay_alu instid0(VALU_DEP_1)
	v_subrev_nc_u32_e32 v10, s53, v2
	s_or_b32 exec_lo, exec_lo, s49
	v_mov_b32_e32 v12, 1
	s_and_saveexec_b32 s49, s48
	s_cbranch_execz .LBB24_12
.LBB24_15:                              ;   in Loop: Header=BB24_9 Depth=3
	v_mov_b32_e32 v12, 0
	s_or_b32 exec_lo, exec_lo, s49
	s_delay_alu instid0(SALU_CYCLE_1)
	s_and_not1_b32 vcc_lo, exec_lo, s51
	s_cbranch_vccnz .LBB24_8
.LBB24_16:                              ;   in Loop: Header=BB24_9 Depth=3
	v_cmp_le_u32_e32 vcc_lo, s53, v2
	v_add_nc_u32_e32 v13, 1, v11
	s_mov_b64 s[48:49], s[46:47]
	s_mov_b32 s57, s18
	v_dual_cndmask_b32 v2, v2, v10, vcc_lo :: v_dual_bitop2_b32 v9, s56, v9 bitop3:0x14
	s_delay_alu instid0(VALU_DEP_2) | instskip(NEXT) | instid1(VALU_DEP_2)
	v_cndmask_b32_e32 v11, v11, v13, vcc_lo
	v_cmp_le_u32_e32 vcc_lo, s53, v2
	s_delay_alu instid0(VALU_DEP_2) | instskip(NEXT) | instid1(VALU_DEP_1)
	v_add_nc_u32_e32 v10, 1, v11
	v_cndmask_b32_e32 v2, v11, v10, vcc_lo
	s_delay_alu instid0(VALU_DEP_1) | instskip(NEXT) | instid1(VALU_DEP_1)
	v_xor_b32_e32 v2, v2, v9
	v_sub_nc_u32_e32 v10, v2, v9
	s_delay_alu instid0(VALU_DEP_1) | instskip(SKIP_1) | instid1(VALU_DEP_2)
	v_ashrrev_i32_e32 v11, 31, v10
	v_cmp_gt_i32_e32 vcc_lo, s30, v10
	v_add_nc_u64_e32 v[14:15], s[44:45], v[10:11]
	v_cndmask_b32_e32 v9, 0, v12, vcc_lo
	s_delay_alu instid0(VALU_DEP_2) | instskip(NEXT) | instid1(VALU_DEP_1)
	v_mul_u64_e32 v[14:15], s[8:9], v[14:15]
	v_lshl_add_u64 v[10:11], v[14:15], 2, s[4:5]
	v_mov_b32_e32 v14, v7
	s_branch .LBB24_18
.LBB24_17:                              ;   in Loop: Header=BB24_18 Depth=4
	s_or_b32 exec_lo, exec_lo, s58
	v_subrev_nc_u32_e32 v14, s14, v14
	s_add_co_i32 s57, s57, -1
	s_add_nc_u64 s[48:49], s[48:49], 4
	s_cmp_eq_u32 s57, 0
	s_cbranch_scc1 .LBB24_8
.LBB24_18:                              ;   Parent Loop BB24_3 Depth=1
                                        ;     Parent Loop BB24_6 Depth=2
                                        ;       Parent Loop BB24_9 Depth=3
                                        ; =>      This Inner Loop Header: Depth=4
	s_delay_alu instid0(VALU_DEP_1)
	v_sub_nc_u32_e32 v16, 0, v14
	s_mov_b32 s58, 0
	s_mov_b32 s59, exec_lo
                                        ; implicit-def: $vgpr12
                                        ; implicit-def: $vgpr13
                                        ; implicit-def: $vgpr2
                                        ; implicit-def: $vgpr15
	v_cmpx_lt_i32_e32 -1, v14
	s_xor_b32 s59, exec_lo, s59
	s_cbranch_execnz .LBB24_24
; %bb.19:                               ;   in Loop: Header=BB24_18 Depth=4
	s_and_not1_saveexec_b32 s59, s59
	s_cbranch_execnz .LBB24_25
.LBB24_20:                              ;   in Loop: Header=BB24_18 Depth=4
	s_or_b32 exec_lo, exec_lo, s59
	v_mov_b32_e32 v16, 1
	s_and_saveexec_b32 s59, s58
.LBB24_21:                              ;   in Loop: Header=BB24_18 Depth=4
	v_mov_b32_e32 v16, 0
.LBB24_22:                              ;   in Loop: Header=BB24_18 Depth=4
	s_or_b32 exec_lo, exec_lo, s59
	v_cmp_le_u32_e32 vcc_lo, s17, v2
	v_add_nc_u32_e32 v17, 1, v13
	s_mov_b32 s58, exec_lo
	v_dual_cndmask_b32 v2, v2, v15, vcc_lo :: v_dual_bitop2_b32 v12, s12, v12 bitop3:0x14
	s_delay_alu instid0(VALU_DEP_2) | instskip(NEXT) | instid1(VALU_DEP_2)
	v_cndmask_b32_e32 v13, v13, v17, vcc_lo
	v_cmp_le_u32_e32 vcc_lo, s17, v2
	s_delay_alu instid0(VALU_DEP_2) | instskip(NEXT) | instid1(VALU_DEP_1)
	v_add_nc_u32_e32 v15, 1, v13
	v_cndmask_b32_e32 v2, v13, v15, vcc_lo
	s_delay_alu instid0(VALU_DEP_1) | instskip(NEXT) | instid1(VALU_DEP_1)
	v_xor_b32_e32 v2, v2, v12
	v_sub_nc_u32_e32 v12, v2, v12
	s_delay_alu instid0(VALU_DEP_1) | instskip(SKIP_1) | instid1(VALU_DEP_1)
	v_cmp_gt_i32_e32 vcc_lo, s8, v12
	v_cndmask_b32_e32 v2, 0, v16, vcc_lo
	v_and_b32_e32 v2, v2, v9
	s_delay_alu instid0(VALU_DEP_1) | instskip(NEXT) | instid1(VALU_DEP_1)
	v_and_b32_e32 v2, 1, v2
	v_cmpx_eq_u32_e32 1, v2
	s_cbranch_execz .LBB24_17
; %bb.23:                               ;   in Loop: Header=BB24_18 Depth=4
	v_ashrrev_i32_e32 v13, 31, v12
	s_load_b32 s59, s[48:49], 0x0
	s_delay_alu instid0(VALU_DEP_1)
	v_lshl_add_u64 v[12:13], v[12:13], 2, v[10:11]
	global_load_b32 v2, v[12:13], off
	s_wait_kmcnt 0x0
	v_cvt_f64_f32_e32 v[16:17], s59
	s_wait_loadcnt 0x0
	s_wait_xcnt 0x0
	v_cvt_f64_f32_e32 v[12:13], v2
	s_delay_alu instid0(VALU_DEP_1)
	v_fmac_f64_e32 v[4:5], v[12:13], v[16:17]
	s_branch .LBB24_17
.LBB24_24:                              ;   in Loop: Header=BB24_18 Depth=4
	v_max_i32_e32 v2, v14, v16
	s_delay_alu instid0(VALU_DEP_1) | instskip(NEXT) | instid1(VALU_DEP_1)
	v_mul_u64_e32 v[12:13], s[36:37], v[2:3]
	v_mul_lo_u32 v12, v13, s17
	s_delay_alu instid0(VALU_DEP_1) | instskip(NEXT) | instid1(VALU_DEP_1)
	v_dual_sub_nc_u32 v2, v2, v12 :: v_dual_ashrrev_i32 v12, 31, v14
	v_subrev_nc_u32_e32 v15, s17, v2
	v_cmp_le_u32_e32 vcc_lo, s17, v2
	s_delay_alu instid0(VALU_DEP_2) | instskip(NEXT) | instid1(VALU_DEP_1)
	v_cndmask_b32_e32 v16, v2, v15, vcc_lo
	v_subrev_nc_u32_e32 v17, s17, v16
	v_cmp_le_u32_e32 vcc_lo, s17, v16
	s_delay_alu instid0(VALU_DEP_2) | instskip(NEXT) | instid1(VALU_DEP_1)
	v_cndmask_b32_e32 v16, v16, v17, vcc_lo
	v_xor_b32_e32 v16, v16, v12
	s_delay_alu instid0(VALU_DEP_1) | instskip(NEXT) | instid1(VALU_DEP_1)
	v_sub_nc_u32_e32 v16, v16, v12
	v_cmp_ne_u32_e32 vcc_lo, 0, v16
                                        ; implicit-def: $vgpr16
	s_and_b32 s58, vcc_lo, exec_lo
	s_and_not1_saveexec_b32 s59, s59
	s_cbranch_execz .LBB24_20
.LBB24_25:                              ;   in Loop: Header=BB24_18 Depth=4
	v_max_i32_e32 v2, v14, v16
	s_or_b32 s58, s58, exec_lo
	s_delay_alu instid0(VALU_DEP_1) | instskip(NEXT) | instid1(VALU_DEP_1)
	v_mul_u64_e32 v[12:13], s[36:37], v[2:3]
	v_mul_lo_u32 v12, v13, s17
	s_delay_alu instid0(VALU_DEP_1) | instskip(NEXT) | instid1(VALU_DEP_1)
	v_dual_sub_nc_u32 v2, v2, v12 :: v_dual_ashrrev_i32 v12, 31, v14
	v_subrev_nc_u32_e32 v15, s17, v2
	s_or_b32 exec_lo, exec_lo, s59
	v_mov_b32_e32 v16, 1
	s_and_saveexec_b32 s59, s58
	s_cbranch_execnz .LBB24_21
	s_branch .LBB24_22
.LBB24_26:                              ;   in Loop: Header=BB24_3 Depth=1
	s_delay_alu instid0(VALU_DEP_1) | instskip(SKIP_1) | instid1(VALU_DEP_1)
	v_dual_ashrrev_i32 v9, 31, v8 :: v_dual_ashrrev_i32 v7, 31, v6
	s_and_not1_b32 vcc_lo, exec_lo, s54
	v_mul_u64_e32 v[8:9], s[28:29], v[8:9]
	s_delay_alu instid0(VALU_DEP_1) | instskip(NEXT) | instid1(VALU_DEP_1)
	v_lshl_add_u64 v[8:9], v[8:9], 2, s[0:1]
	v_lshl_add_u64 v[6:7], v[6:7], 2, v[8:9]
	s_cbranch_vccnz .LBB24_2
; %bb.27:                               ;   in Loop: Header=BB24_3 Depth=1
	global_load_b32 v1, v[6:7], off
	s_wait_loadcnt 0x0
	v_cvt_f64_f32_e32 v[8:9], v1
	s_delay_alu instid0(VALU_DEP_1) | instskip(NEXT) | instid1(VALU_DEP_1)
	v_mul_f64_e32 v[8:9], s[26:27], v[8:9]
	v_fmac_f64_e32 v[8:9], s[24:25], v[4:5]
	s_delay_alu instid0(VALU_DEP_1)
	v_mov_b64_e32 v[4:5], v[8:9]
	s_branch .LBB24_2
.LBB24_28:
	s_endpgm
	.section	.rodata,"a",@progbits
	.p2align	6, 0x0
	.amdhsa_kernel naive_conv_ab_packed_bwd_nchw_float_double_float
		.amdhsa_group_segment_fixed_size 0
		.amdhsa_private_segment_fixed_size 0
		.amdhsa_kernarg_size 480
		.amdhsa_user_sgpr_count 2
		.amdhsa_user_sgpr_dispatch_ptr 0
		.amdhsa_user_sgpr_queue_ptr 0
		.amdhsa_user_sgpr_kernarg_segment_ptr 1
		.amdhsa_user_sgpr_dispatch_id 0
		.amdhsa_user_sgpr_kernarg_preload_length 0
		.amdhsa_user_sgpr_kernarg_preload_offset 0
		.amdhsa_user_sgpr_private_segment_size 0
		.amdhsa_wavefront_size32 1
		.amdhsa_uses_dynamic_stack 0
		.amdhsa_enable_private_segment 0
		.amdhsa_system_sgpr_workgroup_id_x 1
		.amdhsa_system_sgpr_workgroup_id_y 0
		.amdhsa_system_sgpr_workgroup_id_z 0
		.amdhsa_system_sgpr_workgroup_info 0
		.amdhsa_system_vgpr_workitem_id 0
		.amdhsa_next_free_vgpr 18
		.amdhsa_next_free_sgpr 60
		.amdhsa_named_barrier_count 0
		.amdhsa_reserve_vcc 1
		.amdhsa_float_round_mode_32 0
		.amdhsa_float_round_mode_16_64 0
		.amdhsa_float_denorm_mode_32 3
		.amdhsa_float_denorm_mode_16_64 3
		.amdhsa_fp16_overflow 0
		.amdhsa_memory_ordered 1
		.amdhsa_forward_progress 1
		.amdhsa_inst_pref_size 16
		.amdhsa_round_robin_scheduling 0
		.amdhsa_exception_fp_ieee_invalid_op 0
		.amdhsa_exception_fp_denorm_src 0
		.amdhsa_exception_fp_ieee_div_zero 0
		.amdhsa_exception_fp_ieee_overflow 0
		.amdhsa_exception_fp_ieee_underflow 0
		.amdhsa_exception_fp_ieee_inexact 0
		.amdhsa_exception_int_div_zero 0
	.end_amdhsa_kernel
	.text
.Lfunc_end24:
	.size	naive_conv_ab_packed_bwd_nchw_float_double_float, .Lfunc_end24-naive_conv_ab_packed_bwd_nchw_float_double_float
                                        ; -- End function
	.set naive_conv_ab_packed_bwd_nchw_float_double_float.num_vgpr, 18
	.set naive_conv_ab_packed_bwd_nchw_float_double_float.num_agpr, 0
	.set naive_conv_ab_packed_bwd_nchw_float_double_float.numbered_sgpr, 60
	.set naive_conv_ab_packed_bwd_nchw_float_double_float.num_named_barrier, 0
	.set naive_conv_ab_packed_bwd_nchw_float_double_float.private_seg_size, 0
	.set naive_conv_ab_packed_bwd_nchw_float_double_float.uses_vcc, 1
	.set naive_conv_ab_packed_bwd_nchw_float_double_float.uses_flat_scratch, 0
	.set naive_conv_ab_packed_bwd_nchw_float_double_float.has_dyn_sized_stack, 0
	.set naive_conv_ab_packed_bwd_nchw_float_double_float.has_recursion, 0
	.set naive_conv_ab_packed_bwd_nchw_float_double_float.has_indirect_call, 0
	.section	.AMDGPU.csdata,"",@progbits
; Kernel info:
; codeLenInByte = 2020
; TotalNumSgprs: 62
; NumVgprs: 18
; ScratchSize: 0
; MemoryBound: 0
; FloatMode: 240
; IeeeMode: 1
; LDSByteSize: 0 bytes/workgroup (compile time only)
; SGPRBlocks: 0
; VGPRBlocks: 1
; NumSGPRsForWavesPerEU: 62
; NumVGPRsForWavesPerEU: 18
; NamedBarCnt: 0
; Occupancy: 16
; WaveLimiterHint : 0
; COMPUTE_PGM_RSRC2:SCRATCH_EN: 0
; COMPUTE_PGM_RSRC2:USER_SGPR: 2
; COMPUTE_PGM_RSRC2:TRAP_HANDLER: 0
; COMPUTE_PGM_RSRC2:TGID_X_EN: 1
; COMPUTE_PGM_RSRC2:TGID_Y_EN: 0
; COMPUTE_PGM_RSRC2:TGID_Z_EN: 0
; COMPUTE_PGM_RSRC2:TIDIG_COMP_CNT: 0
	.text
	.protected	naive_conv_ab_nonpacked_bwd_nchw_float_double_float ; -- Begin function naive_conv_ab_nonpacked_bwd_nchw_float_double_float
	.globl	naive_conv_ab_nonpacked_bwd_nchw_float_double_float
	.p2align	8
	.type	naive_conv_ab_nonpacked_bwd_nchw_float_double_float,@function
naive_conv_ab_nonpacked_bwd_nchw_float_double_float: ; @naive_conv_ab_nonpacked_bwd_nchw_float_double_float
; %bb.0:
	s_load_b256 s[20:27], s[0:1], 0xa0
	s_bfe_u32 s2, ttmp6, 0x4000c
	s_and_b32 s3, ttmp6, 15
	s_add_co_i32 s2, s2, 1
	s_getreg_b32 s4, hwreg(HW_REG_IB_STS2, 6, 4)
	s_mul_i32 s2, ttmp9, s2
	s_mov_b32 s10, exec_lo
	s_add_co_i32 s3, s3, s2
	s_cmp_eq_u32 s4, 0
	s_cselect_b32 s4, ttmp9, s3
	s_wait_kmcnt 0x0
	s_abs_i32 s3, s24
	s_mul_i32 s20, s21, s20
	s_cvt_f32_u32 s2, s3
	s_delay_alu instid0(SALU_CYCLE_3) | instskip(SKIP_1) | instid1(TRANS32_DEP_1)
	v_rcp_iflag_f32_e32 v1, s2
	v_nop
	v_readfirstlane_b32 s2, v1
	s_mul_f32 s2, s2, 0x4f7ffffe
	s_delay_alu instid0(SALU_CYCLE_3) | instskip(SKIP_1) | instid1(SALU_CYCLE_2)
	s_cvt_u32_f32 s5, s2
	s_sub_co_i32 s2, 0, s3
	s_mul_i32 s2, s2, s5
	s_delay_alu instid0(SALU_CYCLE_1) | instskip(SKIP_2) | instid1(SALU_CYCLE_1)
	s_mul_hi_u32 s6, s5, s2
	s_abs_i32 s2, s4
	s_add_co_i32 s5, s5, s6
	s_mul_hi_u32 s5, s2, s5
	s_delay_alu instid0(SALU_CYCLE_1) | instskip(SKIP_2) | instid1(SALU_CYCLE_1)
	s_mul_i32 s6, s5, s3
	s_add_co_i32 s7, s5, 1
	s_sub_co_i32 s6, s2, s6
	s_sub_co_i32 s8, s6, s3
	s_cmp_ge_u32 s6, s3
	s_cselect_b32 s5, s7, s5
	s_cselect_b32 s6, s8, s6
	s_add_co_i32 s7, s5, 1
	s_cmp_ge_u32 s6, s3
	s_mul_i32 s6, s24, s22
	s_cselect_b32 s8, s7, s5
	s_abs_i32 s5, s22
	s_abs_i32 s22, s6
	s_cvt_f32_u32 s3, s5
	s_cvt_f32_u32 s7, s22
	s_delay_alu instid0(SALU_CYCLE_2) | instskip(NEXT) | instid1(SALU_CYCLE_2)
	v_rcp_iflag_f32_e32 v1, s3
	v_rcp_iflag_f32_e32 v2, s7
	s_mov_b32 s3, 0
	s_delay_alu instid0(TRANS32_DEP_2) | instskip(NEXT) | instid1(TRANS32_DEP_1)
	v_readfirstlane_b32 s9, v1
	v_readfirstlane_b32 s7, v2
	v_cmpx_gt_i32_e64 s20, v0
	s_cbranch_execz .LBB25_28
; %bb.1:
	s_ashr_i32 s28, s4, 31
	s_ashr_i32 s10, s24, 31
	s_mul_f32 s9, s9, 0x4f7ffffe
	s_xor_b32 s10, s28, s10
	s_mul_f32 s7, s7, 0x4f7ffffe
	s_xor_b32 s8, s8, s10
	s_cvt_u32_f32 s9, s9
	s_sub_co_i32 s12, s8, s10
	s_sub_co_i32 s8, 0, s5
	s_cvt_u32_f32 s7, s7
	s_mul_i32 s8, s8, s9
	s_sub_co_i32 s13, 0, s22
	s_mul_hi_u32 s10, s9, s8
	s_abs_i32 s8, s12
	s_add_co_i32 s10, s9, s10
	s_mov_b32 s9, s3
	s_mov_b32 s11, s3
	s_mul_i32 s13, s13, s7
	s_mul_u64 s[10:11], s[8:9], s[10:11]
	s_mul_hi_u32 s9, s7, s13
	s_ashr_i32 s30, s6, 31
	s_add_co_i32 s6, s7, s9
	s_mul_i32 s7, s11, s5
	s_ashr_i32 s29, s12, 31
	s_mul_i32 s12, s12, s24
	s_sub_co_i32 s7, s8, s7
	s_sub_co_i32 s34, s4, s12
	;; [unrolled: 1-line block ×3, first 2 shown]
	s_cmp_ge_u32 s7, s5
	s_load_b256 s[36:43], s[0:1], 0x0
	s_cselect_b32 s4, s4, s7
	s_mov_b32 s7, s3
	s_sub_co_i32 s8, s4, s5
	s_cmp_ge_u32 s4, s5
	s_mul_u64 s[44:45], s[2:3], s[6:7]
	s_cselect_b32 s4, s8, s4
	s_xor_b32 s33, s28, s30
	s_xor_b32 s24, s4, s29
	s_load_b512 s[4:19], s[0:1], 0x28
	s_sub_co_i32 s52, s24, s29
	s_mul_i32 s24, s45, s22
	s_clause 0x1
	s_load_b64 s[54:55], s[0:1], 0x98
	s_load_b128 s[28:31], s[0:1], 0x88
	s_sub_co_i32 s2, s2, s24
	s_add_co_i32 s24, s45, 1
	s_sub_co_i32 s35, s2, s22
	s_cmp_ge_u32 s2, s22
	s_load_b64 s[66:67], s[0:1], 0x20
	s_cselect_b32 s24, s24, s45
	s_load_b256 s[44:51], s[0:1], 0xc0
	s_cselect_b32 s2, s35, s2
	s_add_co_i32 s35, s24, 1
	s_cmp_ge_u32 s2, s22
	s_wait_kmcnt 0x0
	v_cmp_neq_f64_e64 s68, s[42:43], 0
	s_cselect_b32 s2, s35, s24
	s_ashr_i32 s53, s52, 31
	s_xor_b32 s2, s2, s33
	s_ashr_i32 s35, s34, 31
	s_sub_co_i32 s60, s2, s33
	v_cmp_neq_f64_e64 s2, s[40:41], 1.0
	s_ashr_i32 s61, s60, 31
	s_mul_u64 s[12:13], s[12:13], s[52:53]
	s_mul_u64 s[10:11], s[10:11], s[60:61]
	;; [unrolled: 1-line block ×5, first 2 shown]
	s_lshl_b64 s[12:13], s[12:13], 2
	s_lshl_b64 s[10:11], s[10:11], 2
	;; [unrolled: 1-line block ×5, first 2 shown]
	s_cmp_gt_i32 s23, 0
	s_add_nc_u64 s[12:13], s[36:37], s[12:13]
	s_cselect_b32 s22, -1, 0
	s_cmp_gt_i32 s49, 0
	s_add_nc_u64 s[10:11], s[12:13], s[10:11]
	s_cselect_b32 s24, -1, 0
	s_cmp_gt_i32 s50, 0
	s_load_b32 s69, s[0:1], 0xec
	s_cselect_b32 s33, -1, 0
	s_abs_i32 s51, s21
	s_abs_i32 s62, s27
	s_cvt_f32_u32 s52, s51
	s_cvt_f32_u32 s13, s62
	s_abs_i32 s63, s44
	s_mul_u64 s[18:19], s[18:19], s[34:35]
	v_rcp_iflag_f32_e32 v1, s52
	s_load_b256 s[52:59], s[0:1], 0x68
	s_wait_xcnt 0x0
	s_add_nc_u64 s[0:1], s[10:11], s[8:9]
	s_cvt_f32_u32 s11, s63
	s_add_nc_u64 s[8:9], s[66:67], s[64:65]
	s_or_b32 s64, s2, s68
	s_add_nc_u64 s[8:9], s[8:9], s[30:31]
	v_nop
	v_readfirstlane_b32 s12, v1
	v_rcp_iflag_f32_e32 v1, s13
	s_lshl_b64 s[34:35], s[18:19], 2
	v_mov_b32_e32 v3, 0
	s_ashr_i32 s66, s21, 31
	s_mul_f32 s10, s12, 0x4f7ffffe
	s_wait_kmcnt 0x0
	s_and_b32 s65, s69, 0xffff
	s_ashr_i32 s27, s27, 31
	s_ashr_i32 s44, s44, 31
	s_cvt_u32_f32 s2, s10
	v_readfirstlane_b32 s10, v1
	v_rcp_iflag_f32_e32 v1, s11
	s_sub_co_i32 s11, 0, s51
	s_mov_b32 s19, s3
	s_mul_i32 s11, s11, s2
	s_mul_f32 s12, s10, 0x4f7ffffe
	s_mul_hi_u32 s10, s2, s11
	s_mul_u64 s[30:31], s[54:55], s[60:61]
	v_nop
	v_readfirstlane_b32 s13, v1
	s_add_co_i32 s10, s2, s10
	s_cvt_u32_f32 s2, s12
	s_sub_co_i32 s12, 0, s62
	s_lshl_b64 s[30:31], s[30:31], 2
	s_mul_f32 s13, s13, 0x4f7ffffe
	s_mul_i32 s12, s12, s2
	s_add_nc_u64 s[30:31], s[34:35], s[30:31]
	s_mul_hi_u32 s12, s2, s12
	s_cvt_u32_f32 s36, s13
	s_add_co_i32 s12, s2, s12
	s_sub_co_i32 s2, 0, s63
	s_mov_b32 s11, s3
	s_mul_i32 s2, s2, s36
	s_mov_b32 s13, s3
	s_mul_hi_u32 s2, s36, s2
	s_add_nc_u64 s[30:31], s[38:39], s[30:31]
	s_add_co_i32 s18, s36, s2
	s_lshl_b64 s[34:35], s[52:53], 2
	s_lshl_b64 s[16:17], s[16:17], 2
	;; [unrolled: 1-line block ×3, first 2 shown]
	s_mov_b32 s60, 0
	s_branch .LBB25_3
.LBB25_2:                               ;   in Loop: Header=BB25_3 Depth=1
	s_delay_alu instid0(VALU_DEP_1) | instskip(SKIP_1) | instid1(VALU_DEP_1)
	v_cvt_f32_f64_e32 v1, v[4:5]
	v_add_nc_u32_e32 v0, s65, v0
	v_cmp_le_i32_e32 vcc_lo, s20, v0
	s_or_b32 s60, vcc_lo, s60
	global_store_b32 v[6:7], v1, off
	s_wait_xcnt 0x0
	s_and_not1_b32 exec_lo, exec_lo, s60
	s_cbranch_execz .LBB25_28
.LBB25_3:                               ; =>This Loop Header: Depth=1
                                        ;     Child Loop BB25_6 Depth 2
                                        ;       Child Loop BB25_9 Depth 3
                                        ;         Child Loop BB25_18 Depth 4
	v_sub_nc_u32_e32 v1, 0, v0
	s_delay_alu instid0(VALU_DEP_1) | instskip(NEXT) | instid1(VALU_DEP_1)
	v_max_i32_e32 v2, v0, v1
	v_mul_u64_e32 v[4:5], s[10:11], v[2:3]
	s_delay_alu instid0(VALU_DEP_1) | instskip(NEXT) | instid1(VALU_DEP_1)
	v_mul_lo_u32 v1, v5, s51
	v_sub_nc_u32_e32 v1, v2, v1
	v_add_nc_u32_e32 v2, 1, v5
	s_delay_alu instid0(VALU_DEP_2) | instskip(NEXT) | instid1(VALU_DEP_2)
	v_cmp_le_u32_e32 vcc_lo, s51, v1
	v_cndmask_b32_e32 v2, v5, v2, vcc_lo
	v_subrev_nc_u32_e32 v4, s51, v1
	v_ashrrev_i32_e32 v5, 31, v0
	s_delay_alu instid0(VALU_DEP_2) | instskip(NEXT) | instid1(VALU_DEP_1)
	v_dual_cndmask_b32 v1, v1, v4 :: v_dual_add_nc_u32 v4, 1, v2
	v_cmp_le_u32_e32 vcc_lo, s51, v1
	s_delay_alu instid0(VALU_DEP_2) | instskip(SKIP_1) | instid1(VALU_DEP_1)
	v_dual_cndmask_b32 v1, v2, v4, vcc_lo :: v_dual_bitop2_b32 v5, s66, v5 bitop3:0x14
	s_and_not1_b32 vcc_lo, exec_lo, s22
	v_xor_b32_e32 v1, v1, v5
	s_delay_alu instid0(VALU_DEP_1) | instskip(SKIP_1) | instid1(VALU_DEP_2)
	v_sub_nc_u32_e32 v6, v1, v5
	v_mov_b64_e32 v[4:5], 0
	v_mul_lo_u32 v1, v6, s21
	s_delay_alu instid0(VALU_DEP_1)
	v_sub_nc_u32_e32 v8, v0, v1
	s_cbranch_vccnz .LBB25_26
; %bb.4:                                ;   in Loop: Header=BB25_3 Depth=1
	s_delay_alu instid0(VALU_DEP_1)
	v_dual_add_nc_u32 v1, s47, v6 :: v_dual_add_nc_u32 v7, s48, v8
	s_mov_b32 s2, 0
	s_mov_b64 s[36:37], s[30:31]
	s_branch .LBB25_6
.LBB25_5:                               ;   in Loop: Header=BB25_6 Depth=2
	s_add_co_i32 s2, s2, 1
	s_add_nc_u64 s[36:37], s[36:37], s[34:35]
	s_cmp_eq_u32 s2, s23
	s_cbranch_scc1 .LBB25_26
.LBB25_6:                               ;   Parent Loop BB25_3 Depth=1
                                        ; =>  This Loop Header: Depth=2
                                        ;       Child Loop BB25_9 Depth 3
                                        ;         Child Loop BB25_18 Depth 4
	s_and_not1_b32 vcc_lo, exec_lo, s24
	s_cbranch_vccnz .LBB25_5
; %bb.7:                                ;   in Loop: Header=BB25_6 Depth=2
	s_mul_u64 s[38:39], s[28:29], s[2:3]
	s_mov_b32 s61, 0
	s_lshl_b64 s[38:39], s[38:39], 2
	s_mov_b64 s[52:53], s[36:37]
	s_add_nc_u64 s[38:39], s[8:9], s[38:39]
	s_branch .LBB25_9
.LBB25_8:                               ;   in Loop: Header=BB25_9 Depth=3
	s_add_co_i32 s61, s61, 1
	s_add_nc_u64 s[52:53], s[52:53], s[16:17]
	s_cmp_eq_u32 s61, s49
	s_cbranch_scc1 .LBB25_5
.LBB25_9:                               ;   Parent Loop BB25_3 Depth=1
                                        ;     Parent Loop BB25_6 Depth=2
                                        ; =>    This Loop Header: Depth=3
                                        ;         Child Loop BB25_18 Depth 4
	s_mul_i32 s54, s45, s61
	s_mov_b32 s55, exec_lo
	v_subrev_nc_u32_e32 v12, s54, v1
	s_mov_b32 s54, 0
                                        ; implicit-def: $vgpr9
                                        ; implicit-def: $vgpr11
                                        ; implicit-def: $vgpr2
                                        ; implicit-def: $vgpr10
	s_delay_alu instid0(VALU_DEP_1)
	v_cmpx_lt_i32_e32 -1, v12
	s_xor_b32 s55, exec_lo, s55
	s_cbranch_execnz .LBB25_13
; %bb.10:                               ;   in Loop: Header=BB25_9 Depth=3
	s_and_not1_saveexec_b32 s55, s55
	s_cbranch_execnz .LBB25_14
.LBB25_11:                              ;   in Loop: Header=BB25_9 Depth=3
	s_or_b32 exec_lo, exec_lo, s55
	v_mov_b32_e32 v12, 1
	s_and_saveexec_b32 s55, s54
	s_cbranch_execnz .LBB25_15
.LBB25_12:                              ;   in Loop: Header=BB25_9 Depth=3
	s_or_b32 exec_lo, exec_lo, s55
	s_delay_alu instid0(SALU_CYCLE_1)
	s_and_not1_b32 vcc_lo, exec_lo, s33
	s_cbranch_vccz .LBB25_16
	s_branch .LBB25_8
.LBB25_13:                              ;   in Loop: Header=BB25_9 Depth=3
	v_sub_nc_u32_e32 v2, 0, v12
	s_delay_alu instid0(VALU_DEP_1) | instskip(NEXT) | instid1(VALU_DEP_1)
	v_max_i32_e32 v2, v12, v2
	v_mul_u64_e32 v[10:11], s[12:13], v[2:3]
	s_delay_alu instid0(VALU_DEP_1) | instskip(NEXT) | instid1(VALU_DEP_1)
	v_mul_lo_u32 v9, v11, s62
	v_dual_sub_nc_u32 v2, v2, v9 :: v_dual_ashrrev_i32 v9, 31, v12
	s_delay_alu instid0(VALU_DEP_1) | instskip(SKIP_1) | instid1(VALU_DEP_2)
	v_subrev_nc_u32_e32 v10, s62, v2
	v_cmp_le_u32_e32 vcc_lo, s62, v2
	v_cndmask_b32_e32 v13, v2, v10, vcc_lo
	s_delay_alu instid0(VALU_DEP_1) | instskip(SKIP_1) | instid1(VALU_DEP_2)
	v_subrev_nc_u32_e32 v14, s62, v13
	v_cmp_le_u32_e32 vcc_lo, s62, v13
	v_cndmask_b32_e32 v12, v13, v14, vcc_lo
	s_delay_alu instid0(VALU_DEP_1) | instskip(NEXT) | instid1(VALU_DEP_1)
	v_xor_b32_e32 v12, v12, v9
	v_sub_nc_u32_e32 v12, v12, v9
	s_delay_alu instid0(VALU_DEP_1)
	v_cmp_ne_u32_e32 vcc_lo, 0, v12
                                        ; implicit-def: $vgpr12
	s_and_b32 s54, vcc_lo, exec_lo
	s_and_not1_saveexec_b32 s55, s55
	s_cbranch_execz .LBB25_11
.LBB25_14:                              ;   in Loop: Header=BB25_9 Depth=3
	v_sub_nc_u32_e32 v2, 0, v12
	s_or_b32 s54, s54, exec_lo
	s_delay_alu instid0(VALU_DEP_1) | instskip(NEXT) | instid1(VALU_DEP_1)
	v_max_i32_e32 v2, v12, v2
	v_mul_u64_e32 v[10:11], s[12:13], v[2:3]
	s_delay_alu instid0(VALU_DEP_1) | instskip(NEXT) | instid1(VALU_DEP_1)
	v_mul_lo_u32 v9, v11, s62
	v_dual_sub_nc_u32 v2, v2, v9 :: v_dual_ashrrev_i32 v9, 31, v12
	s_delay_alu instid0(VALU_DEP_1)
	v_subrev_nc_u32_e32 v10, s62, v2
	s_or_b32 exec_lo, exec_lo, s55
	v_mov_b32_e32 v12, 1
	s_and_saveexec_b32 s55, s54
	s_cbranch_execz .LBB25_12
.LBB25_15:                              ;   in Loop: Header=BB25_9 Depth=3
	v_mov_b32_e32 v12, 0
	s_or_b32 exec_lo, exec_lo, s55
	s_delay_alu instid0(SALU_CYCLE_1)
	s_and_not1_b32 vcc_lo, exec_lo, s33
	s_cbranch_vccnz .LBB25_8
.LBB25_16:                              ;   in Loop: Header=BB25_9 Depth=3
	v_cmp_le_u32_e32 vcc_lo, s62, v2
	v_add_nc_u32_e32 v13, 1, v11
	s_mov_b64 s[54:55], s[52:53]
	s_mov_b32 s67, s50
	v_dual_cndmask_b32 v2, v2, v10, vcc_lo :: v_dual_bitop2_b32 v9, s27, v9 bitop3:0x14
	s_delay_alu instid0(VALU_DEP_2) | instskip(NEXT) | instid1(VALU_DEP_2)
	v_cndmask_b32_e32 v11, v11, v13, vcc_lo
	v_cmp_le_u32_e32 vcc_lo, s62, v2
	s_delay_alu instid0(VALU_DEP_2) | instskip(NEXT) | instid1(VALU_DEP_1)
	v_add_nc_u32_e32 v10, 1, v11
	v_cndmask_b32_e32 v2, v11, v10, vcc_lo
	s_delay_alu instid0(VALU_DEP_1) | instskip(NEXT) | instid1(VALU_DEP_1)
	v_xor_b32_e32 v2, v2, v9
	v_sub_nc_u32_e32 v10, v2, v9
	s_delay_alu instid0(VALU_DEP_1) | instskip(SKIP_1) | instid1(VALU_DEP_2)
	v_ashrrev_i32_e32 v11, 31, v10
	v_cmp_gt_i32_e32 vcc_lo, s25, v10
	v_mul_u64_e32 v[14:15], s[58:59], v[10:11]
	v_cndmask_b32_e32 v9, 0, v12, vcc_lo
	s_delay_alu instid0(VALU_DEP_2)
	v_lshl_add_u64 v[10:11], v[14:15], 2, s[38:39]
	v_mov_b32_e32 v14, v7
	s_branch .LBB25_18
.LBB25_17:                              ;   in Loop: Header=BB25_18 Depth=4
	s_or_b32 exec_lo, exec_lo, s68
	v_subrev_nc_u32_e32 v14, s46, v14
	s_add_co_i32 s67, s67, -1
	s_add_nc_u64 s[54:55], s[54:55], s[14:15]
	s_cmp_eq_u32 s67, 0
	s_cbranch_scc1 .LBB25_8
.LBB25_18:                              ;   Parent Loop BB25_3 Depth=1
                                        ;     Parent Loop BB25_6 Depth=2
                                        ;       Parent Loop BB25_9 Depth=3
                                        ; =>      This Inner Loop Header: Depth=4
	s_delay_alu instid0(VALU_DEP_1)
	v_sub_nc_u32_e32 v16, 0, v14
	s_mov_b32 s68, 0
	s_mov_b32 s69, exec_lo
                                        ; implicit-def: $vgpr12
                                        ; implicit-def: $vgpr13
                                        ; implicit-def: $vgpr2
                                        ; implicit-def: $vgpr15
	v_cmpx_lt_i32_e32 -1, v14
	s_xor_b32 s69, exec_lo, s69
	s_cbranch_execnz .LBB25_24
; %bb.19:                               ;   in Loop: Header=BB25_18 Depth=4
	s_and_not1_saveexec_b32 s69, s69
	s_cbranch_execnz .LBB25_25
.LBB25_20:                              ;   in Loop: Header=BB25_18 Depth=4
	s_or_b32 exec_lo, exec_lo, s69
	v_mov_b32_e32 v16, 1
	s_and_saveexec_b32 s69, s68
.LBB25_21:                              ;   in Loop: Header=BB25_18 Depth=4
	v_mov_b32_e32 v16, 0
.LBB25_22:                              ;   in Loop: Header=BB25_18 Depth=4
	s_or_b32 exec_lo, exec_lo, s69
	v_cmp_le_u32_e32 vcc_lo, s63, v2
	v_add_nc_u32_e32 v17, 1, v13
	s_mov_b32 s68, exec_lo
	v_dual_cndmask_b32 v2, v2, v15, vcc_lo :: v_dual_bitop2_b32 v12, s44, v12 bitop3:0x14
	s_delay_alu instid0(VALU_DEP_2) | instskip(NEXT) | instid1(VALU_DEP_2)
	v_cndmask_b32_e32 v13, v13, v17, vcc_lo
	v_cmp_le_u32_e32 vcc_lo, s63, v2
	s_delay_alu instid0(VALU_DEP_2) | instskip(NEXT) | instid1(VALU_DEP_1)
	v_add_nc_u32_e32 v15, 1, v13
	v_cndmask_b32_e32 v2, v13, v15, vcc_lo
	s_delay_alu instid0(VALU_DEP_1) | instskip(NEXT) | instid1(VALU_DEP_1)
	v_xor_b32_e32 v2, v2, v12
	v_sub_nc_u32_e32 v12, v2, v12
	s_delay_alu instid0(VALU_DEP_1) | instskip(SKIP_1) | instid1(VALU_DEP_1)
	v_cmp_gt_i32_e32 vcc_lo, s26, v12
	v_cndmask_b32_e32 v2, 0, v16, vcc_lo
	v_and_b32_e32 v2, v2, v9
	s_delay_alu instid0(VALU_DEP_1) | instskip(NEXT) | instid1(VALU_DEP_1)
	v_and_b32_e32 v2, 1, v2
	v_cmpx_eq_u32_e32 1, v2
	s_cbranch_execz .LBB25_17
; %bb.23:                               ;   in Loop: Header=BB25_18 Depth=4
	v_ashrrev_i32_e32 v13, 31, v12
	s_load_b32 s69, s[54:55], 0x0
	s_delay_alu instid0(VALU_DEP_1) | instskip(SKIP_2) | instid1(VALU_DEP_2)
	v_mul_u64_e32 v[12:13], s[56:57], v[12:13]
	s_wait_kmcnt 0x0
	v_cvt_f64_f32_e32 v[16:17], s69
	v_lshl_add_u64 v[12:13], v[12:13], 2, v[10:11]
	global_load_b32 v2, v[12:13], off
	s_wait_loadcnt 0x0
	s_wait_xcnt 0x0
	v_cvt_f64_f32_e32 v[12:13], v2
	s_delay_alu instid0(VALU_DEP_1)
	v_fmac_f64_e32 v[4:5], v[12:13], v[16:17]
	s_branch .LBB25_17
.LBB25_24:                              ;   in Loop: Header=BB25_18 Depth=4
	v_max_i32_e32 v2, v14, v16
	s_delay_alu instid0(VALU_DEP_1) | instskip(NEXT) | instid1(VALU_DEP_1)
	v_mul_u64_e32 v[12:13], s[18:19], v[2:3]
	v_mul_lo_u32 v12, v13, s63
	s_delay_alu instid0(VALU_DEP_1) | instskip(NEXT) | instid1(VALU_DEP_1)
	v_dual_sub_nc_u32 v2, v2, v12 :: v_dual_ashrrev_i32 v12, 31, v14
	v_subrev_nc_u32_e32 v15, s63, v2
	v_cmp_le_u32_e32 vcc_lo, s63, v2
	s_delay_alu instid0(VALU_DEP_2) | instskip(NEXT) | instid1(VALU_DEP_1)
	v_cndmask_b32_e32 v16, v2, v15, vcc_lo
	v_subrev_nc_u32_e32 v17, s63, v16
	v_cmp_le_u32_e32 vcc_lo, s63, v16
	s_delay_alu instid0(VALU_DEP_2) | instskip(NEXT) | instid1(VALU_DEP_1)
	v_cndmask_b32_e32 v16, v16, v17, vcc_lo
	v_xor_b32_e32 v16, v16, v12
	s_delay_alu instid0(VALU_DEP_1) | instskip(NEXT) | instid1(VALU_DEP_1)
	v_sub_nc_u32_e32 v16, v16, v12
	v_cmp_ne_u32_e32 vcc_lo, 0, v16
                                        ; implicit-def: $vgpr16
	s_and_b32 s68, vcc_lo, exec_lo
	s_and_not1_saveexec_b32 s69, s69
	s_cbranch_execz .LBB25_20
.LBB25_25:                              ;   in Loop: Header=BB25_18 Depth=4
	v_max_i32_e32 v2, v14, v16
	s_or_b32 s68, s68, exec_lo
	s_delay_alu instid0(VALU_DEP_1) | instskip(NEXT) | instid1(VALU_DEP_1)
	v_mul_u64_e32 v[12:13], s[18:19], v[2:3]
	v_mul_lo_u32 v12, v13, s63
	s_delay_alu instid0(VALU_DEP_1) | instskip(NEXT) | instid1(VALU_DEP_1)
	v_dual_sub_nc_u32 v2, v2, v12 :: v_dual_ashrrev_i32 v12, 31, v14
	v_subrev_nc_u32_e32 v15, s63, v2
	s_or_b32 exec_lo, exec_lo, s69
	v_mov_b32_e32 v16, 1
	s_and_saveexec_b32 s69, s68
	s_cbranch_execnz .LBB25_21
	s_branch .LBB25_22
.LBB25_26:                              ;   in Loop: Header=BB25_3 Depth=1
	s_delay_alu instid0(VALU_DEP_1) | instskip(SKIP_1) | instid1(VALU_DEP_1)
	v_dual_ashrrev_i32 v7, 31, v6 :: v_dual_ashrrev_i32 v9, 31, v8
	s_and_not1_b32 vcc_lo, exec_lo, s64
	v_mul_u64_e32 v[6:7], s[6:7], v[6:7]
	s_delay_alu instid0(VALU_DEP_2) | instskip(NEXT) | instid1(VALU_DEP_2)
	v_mul_u64_e32 v[8:9], s[4:5], v[8:9]
	v_lshl_add_u64 v[6:7], v[6:7], 2, s[0:1]
	s_delay_alu instid0(VALU_DEP_1)
	v_lshl_add_u64 v[6:7], v[8:9], 2, v[6:7]
	s_cbranch_vccnz .LBB25_2
; %bb.27:                               ;   in Loop: Header=BB25_3 Depth=1
	global_load_b32 v1, v[6:7], off
	s_wait_loadcnt 0x0
	v_cvt_f64_f32_e32 v[8:9], v1
	s_delay_alu instid0(VALU_DEP_1) | instskip(NEXT) | instid1(VALU_DEP_1)
	v_mul_f64_e32 v[8:9], s[42:43], v[8:9]
	v_fmac_f64_e32 v[8:9], s[40:41], v[4:5]
	s_delay_alu instid0(VALU_DEP_1)
	v_mov_b64_e32 v[4:5], v[8:9]
	s_branch .LBB25_2
.LBB25_28:
	s_endpgm
	.section	.rodata,"a",@progbits
	.p2align	6, 0x0
	.amdhsa_kernel naive_conv_ab_nonpacked_bwd_nchw_float_double_float
		.amdhsa_group_segment_fixed_size 0
		.amdhsa_private_segment_fixed_size 0
		.amdhsa_kernarg_size 480
		.amdhsa_user_sgpr_count 2
		.amdhsa_user_sgpr_dispatch_ptr 0
		.amdhsa_user_sgpr_queue_ptr 0
		.amdhsa_user_sgpr_kernarg_segment_ptr 1
		.amdhsa_user_sgpr_dispatch_id 0
		.amdhsa_user_sgpr_kernarg_preload_length 0
		.amdhsa_user_sgpr_kernarg_preload_offset 0
		.amdhsa_user_sgpr_private_segment_size 0
		.amdhsa_wavefront_size32 1
		.amdhsa_uses_dynamic_stack 0
		.amdhsa_enable_private_segment 0
		.amdhsa_system_sgpr_workgroup_id_x 1
		.amdhsa_system_sgpr_workgroup_id_y 0
		.amdhsa_system_sgpr_workgroup_id_z 0
		.amdhsa_system_sgpr_workgroup_info 0
		.amdhsa_system_vgpr_workitem_id 0
		.amdhsa_next_free_vgpr 18
		.amdhsa_next_free_sgpr 70
		.amdhsa_named_barrier_count 0
		.amdhsa_reserve_vcc 1
		.amdhsa_float_round_mode_32 0
		.amdhsa_float_round_mode_16_64 0
		.amdhsa_float_denorm_mode_32 3
		.amdhsa_float_denorm_mode_16_64 3
		.amdhsa_fp16_overflow 0
		.amdhsa_memory_ordered 1
		.amdhsa_forward_progress 1
		.amdhsa_inst_pref_size 16
		.amdhsa_round_robin_scheduling 0
		.amdhsa_exception_fp_ieee_invalid_op 0
		.amdhsa_exception_fp_denorm_src 0
		.amdhsa_exception_fp_ieee_div_zero 0
		.amdhsa_exception_fp_ieee_overflow 0
		.amdhsa_exception_fp_ieee_underflow 0
		.amdhsa_exception_fp_ieee_inexact 0
		.amdhsa_exception_int_div_zero 0
	.end_amdhsa_kernel
	.text
.Lfunc_end25:
	.size	naive_conv_ab_nonpacked_bwd_nchw_float_double_float, .Lfunc_end25-naive_conv_ab_nonpacked_bwd_nchw_float_double_float
                                        ; -- End function
	.set naive_conv_ab_nonpacked_bwd_nchw_float_double_float.num_vgpr, 18
	.set naive_conv_ab_nonpacked_bwd_nchw_float_double_float.num_agpr, 0
	.set naive_conv_ab_nonpacked_bwd_nchw_float_double_float.numbered_sgpr, 70
	.set naive_conv_ab_nonpacked_bwd_nchw_float_double_float.num_named_barrier, 0
	.set naive_conv_ab_nonpacked_bwd_nchw_float_double_float.private_seg_size, 0
	.set naive_conv_ab_nonpacked_bwd_nchw_float_double_float.uses_vcc, 1
	.set naive_conv_ab_nonpacked_bwd_nchw_float_double_float.uses_flat_scratch, 0
	.set naive_conv_ab_nonpacked_bwd_nchw_float_double_float.has_dyn_sized_stack, 0
	.set naive_conv_ab_nonpacked_bwd_nchw_float_double_float.has_recursion, 0
	.set naive_conv_ab_nonpacked_bwd_nchw_float_double_float.has_indirect_call, 0
	.section	.AMDGPU.csdata,"",@progbits
; Kernel info:
; codeLenInByte = 1996
; TotalNumSgprs: 72
; NumVgprs: 18
; ScratchSize: 0
; MemoryBound: 0
; FloatMode: 240
; IeeeMode: 1
; LDSByteSize: 0 bytes/workgroup (compile time only)
; SGPRBlocks: 0
; VGPRBlocks: 1
; NumSGPRsForWavesPerEU: 72
; NumVGPRsForWavesPerEU: 18
; NamedBarCnt: 0
; Occupancy: 16
; WaveLimiterHint : 0
; COMPUTE_PGM_RSRC2:SCRATCH_EN: 0
; COMPUTE_PGM_RSRC2:USER_SGPR: 2
; COMPUTE_PGM_RSRC2:TRAP_HANDLER: 0
; COMPUTE_PGM_RSRC2:TGID_X_EN: 1
; COMPUTE_PGM_RSRC2:TGID_Y_EN: 0
; COMPUTE_PGM_RSRC2:TGID_Z_EN: 0
; COMPUTE_PGM_RSRC2:TIDIG_COMP_CNT: 0
	.text
	.protected	naive_conv_ab_packed_bwd_nchw_half_double_half ; -- Begin function naive_conv_ab_packed_bwd_nchw_half_double_half
	.globl	naive_conv_ab_packed_bwd_nchw_half_double_half
	.p2align	8
	.type	naive_conv_ab_packed_bwd_nchw_half_double_half,@function
naive_conv_ab_packed_bwd_nchw_half_double_half: ; @naive_conv_ab_packed_bwd_nchw_half_double_half
; %bb.0:
	s_load_b512 s[4:19], s[0:1], 0xa0
	s_bfe_u32 s2, ttmp6, 0x4000c
	s_and_b32 s3, ttmp6, 15
	s_add_co_i32 s2, s2, 1
	s_getreg_b32 s20, hwreg(HW_REG_IB_STS2, 6, 4)
	s_mul_i32 s2, ttmp9, s2
	s_mov_b32 s27, exec_lo
	s_add_co_i32 s3, s3, s2
	s_cmp_eq_u32 s20, 0
	s_cselect_b32 s20, ttmp9, s3
	s_wait_kmcnt 0x0
	s_abs_i32 s3, s8
	s_delay_alu instid0(SALU_CYCLE_1) | instskip(NEXT) | instid1(SALU_CYCLE_3)
	s_cvt_f32_u32 s2, s3
	v_rcp_iflag_f32_e32 v1, s2
	v_nop
	s_delay_alu instid0(TRANS32_DEP_1) | instskip(SKIP_1) | instid1(SALU_CYCLE_3)
	v_readfirstlane_b32 s2, v1
	s_mul_f32 s2, s2, 0x4f7ffffe
	s_cvt_u32_f32 s21, s2
	s_sub_co_i32 s2, 0, s3
	s_delay_alu instid0(SALU_CYCLE_2) | instskip(NEXT) | instid1(SALU_CYCLE_1)
	s_mul_i32 s2, s2, s21
	s_mul_hi_u32 s22, s21, s2
	s_abs_i32 s2, s20
	s_add_co_i32 s21, s21, s22
	s_delay_alu instid0(SALU_CYCLE_1) | instskip(NEXT) | instid1(SALU_CYCLE_1)
	s_mul_hi_u32 s21, s2, s21
	s_mul_i32 s22, s21, s3
	s_add_co_i32 s23, s21, 1
	s_sub_co_i32 s22, s2, s22
	s_delay_alu instid0(SALU_CYCLE_1)
	s_sub_co_i32 s24, s22, s3
	s_cmp_ge_u32 s22, s3
	s_cselect_b32 s21, s23, s21
	s_cselect_b32 s22, s24, s22
	s_add_co_i32 s24, s21, 1
	s_cmp_ge_u32 s22, s3
	s_mul_i32 s23, s8, s6
	s_cselect_b32 s25, s24, s21
	s_abs_i32 s22, s6
	s_abs_i32 s21, s23
	s_cvt_f32_u32 s3, s22
	s_cvt_f32_u32 s6, s21
	s_delay_alu instid0(SALU_CYCLE_2) | instskip(NEXT) | instid1(SALU_CYCLE_2)
	v_rcp_iflag_f32_e32 v1, s3
	v_rcp_iflag_f32_e32 v2, s6
	s_mul_i32 s6, s5, s4
	s_mov_b32 s3, 0
	s_delay_alu instid0(TRANS32_DEP_2) | instskip(NEXT) | instid1(TRANS32_DEP_1)
	v_readfirstlane_b32 s26, v1
	v_readfirstlane_b32 s24, v2
	v_cmpx_gt_i32_e64 s6, v0
	s_cbranch_execz .LBB26_30
; %bb.1:
	s_ashr_i32 s28, s20, 31
	s_ashr_i32 s39, s8, 31
	s_mul_f32 s26, s26, 0x4f7ffffe
	s_xor_b32 s27, s28, s39
	s_sub_co_i32 s33, 0, s21
	s_xor_b32 s25, s25, s27
	s_cvt_u32_f32 s26, s26
	s_sub_co_i32 s29, s25, s27
	s_sub_co_i32 s25, 0, s22
	s_mul_f32 s27, s24, 0x4f7ffffe
	s_mul_i32 s25, s25, s26
	s_abs_i32 s24, s29
	s_mul_hi_u32 s25, s26, s25
	s_cvt_u32_f32 s31, s27
	s_add_co_i32 s26, s26, s25
	s_mov_b32 s25, s3
	s_mov_b32 s27, s3
	s_mul_i32 s33, s33, s31
	s_mul_u64 s[26:27], s[24:25], s[26:27]
	s_mul_hi_u32 s25, s31, s33
	s_ashr_i32 s33, s23, 31
	s_mul_i32 s23, s27, s22
	s_ashr_i32 s30, s29, 31
	s_mul_i32 s29, s29, s8
	s_sub_co_i32 s23, s24, s23
	s_add_co_i32 s26, s31, s25
	s_sub_co_i32 s36, s20, s29
	s_sub_co_i32 s20, s23, s22
	s_cmp_ge_u32 s23, s22
	s_mov_b32 s27, s3
	s_cselect_b32 s20, s20, s23
	s_mov_b32 s38, s8
	s_sub_co_i32 s23, s20, s22
	s_cmp_ge_u32 s20, s22
	s_mov_b32 s42, s4
	s_cselect_b32 s20, s23, s20
	s_mul_u64 s[22:23], s[2:3], s[26:27]
	s_xor_b32 s20, s20, s30
	s_xor_b32 s33, s28, s33
	s_sub_co_i32 s30, s20, s30
	s_mul_i32 s20, s23, s21
	v_mov_b32_e32 v3, 0
	s_sub_co_i32 s2, s2, s20
	s_add_co_i32 s20, s23, 1
	s_sub_co_i32 s22, s2, s21
	s_cmp_ge_u32 s2, s21
	s_load_b32 s48, s[0:1], 0xec
	s_cselect_b32 s28, s20, s23
	s_cselect_b32 s2, s22, s2
	s_add_co_i32 s29, s28, 1
	s_cmp_ge_u32 s2, s21
	s_load_b256 s[20:27], s[0:1], 0x0
	s_cselect_b32 s2, s29, s28
	s_mul_i32 s28, s19, s8
	s_xor_b32 s2, s2, s33
	s_ashr_i32 s31, s30, 31
	s_ashr_i32 s29, s28, 31
	s_sub_co_i32 s34, s2, s33
	s_mul_u64 s[40:41], s[30:31], s[28:29]
	s_ashr_i32 s35, s34, 31
	s_ashr_i32 s37, s36, 31
	s_ashr_i32 s43, s4, 31
	s_ashr_i32 s29, s5, 31
	s_mul_u64 s[44:45], s[34:35], s[38:39]
	s_add_nc_u64 s[40:41], s[40:41], s[36:37]
	s_mov_b32 s28, s5
	s_add_nc_u64 s[40:41], s[40:41], s[44:45]
	s_mul_u64 s[42:43], s[28:29], s[42:43]
	s_ashr_i32 s45, s7, 31
	s_mul_u64 s[40:41], s[42:43], s[40:41]
	s_mul_i32 s42, s19, s7
	s_mov_b32 s44, s7
	s_ashr_i32 s43, s42, 31
	s_mul_u64 s[44:45], s[34:35], s[44:45]
	s_mul_u64 s[34:35], s[30:31], s[42:43]
	s_ashr_i32 s31, s9, 31
	s_mov_b32 s30, s9
	s_ashr_i32 s9, s10, 31
	s_mov_b32 s8, s10
	s_add_nc_u64 s[42:43], s[44:45], s[34:35]
	s_mul_u64 s[46:47], s[8:9], s[30:31]
	s_wait_kmcnt 0x0
	v_cmp_neq_f64_e64 s2, s[24:25], 1.0
	s_mul_u64 s[42:43], s[46:47], s[42:43]
	v_cmp_neq_f64_e64 s10, s[26:27], 0
	s_lshl_b64 s[40:41], s[40:41], 1
	s_ashr_i32 s35, s17, 31
	s_ashr_i32 s19, s18, 31
	s_lshl_b64 s[42:43], s[42:43], 1
	s_cmp_gt_i32 s7, 0
	s_load_b64 s[46:47], s[0:1], 0x20
	s_cselect_b32 s33, -1, 0
	s_cmp_gt_i32 s17, 0
	s_wait_xcnt 0x0
	s_add_nc_u64 s[0:1], s[20:21], s[40:41]
	s_cselect_b32 s50, -1, 0
	s_cmp_gt_i32 s18, 0
	s_mov_b32 s34, s17
	s_cselect_b32 s51, -1, 0
	s_abs_i32 s52, s5
	s_abs_i32 s53, s11
	s_cvt_f32_u32 s4, s52
	s_abs_i32 s17, s12
	s_mul_u64 s[40:41], s[44:45], s[38:39]
	s_cvt_f32_u32 s21, s17
	v_rcp_iflag_f32_e32 v1, s4
	s_cvt_f32_u32 s4, s53
	s_add_nc_u64 s[36:37], s[40:41], s[36:37]
	s_mul_u64 s[40:41], s[18:19], s[34:35]
	s_and_b32 s55, s48, 0xffff
	s_mul_u64 s[38:39], s[40:41], s[38:39]
	s_ashr_i32 s56, s11, 31
	v_nop
	v_readfirstlane_b32 s20, v1
	v_rcp_iflag_f32_e32 v1, s4
	s_wait_kmcnt 0x0
	s_add_nc_u64 s[4:5], s[46:47], s[42:43]
	s_mov_b32 s11, s3
	s_ashr_i32 s12, s12, 31
	s_mul_f32 s20, s20, 0x4f7ffffe
	s_or_b32 s54, s2, s10
	s_sub_co_i32 s10, 0, s52
	v_nop
	v_readfirstlane_b32 s42, v1
	v_rcp_iflag_f32_e32 v1, s21
	s_cvt_u32_f32 s2, s20
	s_mov_b32 s21, s3
	s_lshl_b64 s[38:39], s[38:39], 1
	s_mul_f32 s20, s42, 0x4f7ffffe
	s_mul_i32 s10, s10, s2
	v_nop
	v_readfirstlane_b32 s43, v1
	s_mul_hi_u32 s10, s2, s10
	s_cvt_u32_f32 s42, s20
	s_add_co_i32 s20, s2, s10
	s_sub_co_i32 s2, 0, s53
	s_mul_f32 s43, s43, 0x4f7ffffe
	s_mul_i32 s2, s2, s42
	v_mov_b32_e32 v1, 0x7e00
	s_mul_hi_u32 s2, s42, s2
	s_delay_alu instid0(SALU_CYCLE_1) | instskip(SKIP_2) | instid1(SALU_CYCLE_2)
	s_add_co_i32 s10, s42, s2
	s_cvt_u32_f32 s2, s43
	s_sub_co_i32 s42, 0, s17
	s_mul_i32 s42, s42, s2
	s_delay_alu instid0(SALU_CYCLE_1)
	s_mul_hi_u32 s35, s2, s42
	s_mul_u64 s[42:43], s[40:41], s[36:37]
	s_add_co_i32 s36, s2, s35
	s_lshl_b64 s[42:43], s[42:43], 1
	s_mov_b32 s37, s3
	s_add_nc_u64 s[22:23], s[22:23], s[42:43]
	s_lshl_b64 s[40:41], s[18:19], 1
	s_mov_b32 s19, 0
	s_branch .LBB26_3
.LBB26_2:                               ;   in Loop: Header=BB26_3 Depth=1
	v_add_nc_u32_e32 v0, s55, v0
	s_delay_alu instid0(VALU_DEP_1)
	v_cmp_le_i32_e32 vcc_lo, s6, v0
	s_or_b32 s19, vcc_lo, s19
	s_wait_xcnt 0x0
	s_and_not1_b32 exec_lo, exec_lo, s19
	s_cbranch_execz .LBB26_30
.LBB26_3:                               ; =>This Loop Header: Depth=1
                                        ;     Child Loop BB26_6 Depth 2
                                        ;       Child Loop BB26_9 Depth 3
                                        ;         Child Loop BB26_18 Depth 4
	v_sub_nc_u32_e32 v2, 0, v0
	s_delay_alu instid0(VALU_DEP_1) | instskip(NEXT) | instid1(VALU_DEP_1)
	v_max_i32_e32 v2, v0, v2
	v_mul_u64_e32 v[4:5], s[20:21], v[2:3]
	s_delay_alu instid0(VALU_DEP_1) | instskip(NEXT) | instid1(VALU_DEP_1)
	v_mul_lo_u32 v4, v5, s52
	v_dual_sub_nc_u32 v2, v2, v4 :: v_dual_add_nc_u32 v4, 1, v5
	s_delay_alu instid0(VALU_DEP_1) | instskip(SKIP_1) | instid1(VALU_DEP_3)
	v_subrev_nc_u32_e32 v6, s52, v2
	v_cmp_le_u32_e32 vcc_lo, s52, v2
	v_cndmask_b32_e32 v4, v5, v4, vcc_lo
	s_delay_alu instid0(VALU_DEP_3) | instskip(NEXT) | instid1(VALU_DEP_2)
	v_dual_cndmask_b32 v2, v2, v6 :: v_dual_ashrrev_i32 v5, 31, v0
	v_add_nc_u32_e32 v6, 1, v4
	s_delay_alu instid0(VALU_DEP_2) | instskip(NEXT) | instid1(VALU_DEP_2)
	v_cmp_le_u32_e32 vcc_lo, s52, v2
	v_dual_cndmask_b32 v2, v4, v6, vcc_lo :: v_dual_bitop2_b32 v5, s29, v5 bitop3:0x14
	s_and_not1_b32 vcc_lo, exec_lo, s33
	s_delay_alu instid0(VALU_DEP_1) | instskip(NEXT) | instid1(VALU_DEP_1)
	v_xor_b32_e32 v2, v2, v5
	v_sub_nc_u32_e32 v12, v2, v5
	v_mov_b64_e32 v[4:5], 0
	s_delay_alu instid0(VALU_DEP_2) | instskip(NEXT) | instid1(VALU_DEP_1)
	v_mul_lo_u32 v2, v12, s28
	v_sub_nc_u32_e32 v6, v0, v2
	s_cbranch_vccnz .LBB26_26
; %bb.4:                                ;   in Loop: Header=BB26_3 Depth=1
	s_delay_alu instid0(VALU_DEP_1)
	v_dual_add_nc_u32 v7, s15, v12 :: v_dual_add_nc_u32 v13, s16, v6
	s_mov_b32 s2, 0
	s_mov_b64 s[42:43], s[22:23]
	s_branch .LBB26_6
.LBB26_5:                               ;   in Loop: Header=BB26_6 Depth=2
	s_add_co_i32 s2, s2, 1
	s_add_nc_u64 s[42:43], s[42:43], s[38:39]
	s_cmp_eq_u32 s2, s7
	s_cbranch_scc1 .LBB26_26
.LBB26_6:                               ;   Parent Loop BB26_3 Depth=1
                                        ; =>  This Loop Header: Depth=2
                                        ;       Child Loop BB26_9 Depth 3
                                        ;         Child Loop BB26_18 Depth 4
	s_and_not1_b32 vcc_lo, exec_lo, s50
	s_cbranch_vccnz .LBB26_5
; %bb.7:                                ;   in Loop: Header=BB26_6 Depth=2
	s_mul_u64 s[44:45], s[2:3], s[30:31]
	s_mov_b32 s35, 0
	s_mov_b64 s[46:47], s[42:43]
	s_branch .LBB26_9
.LBB26_8:                               ;   in Loop: Header=BB26_9 Depth=3
	s_add_co_i32 s35, s35, 1
	s_add_nc_u64 s[46:47], s[46:47], s[40:41]
	s_cmp_eq_u32 s35, s34
	s_cbranch_scc1 .LBB26_5
.LBB26_9:                               ;   Parent Loop BB26_3 Depth=1
                                        ;     Parent Loop BB26_6 Depth=2
                                        ; =>    This Loop Header: Depth=3
                                        ;         Child Loop BB26_18 Depth 4
	s_mul_i32 s48, s13, s35
	s_mov_b32 s49, exec_lo
	v_subrev_nc_u32_e32 v11, s48, v7
	s_mov_b32 s48, 0
                                        ; implicit-def: $vgpr8
                                        ; implicit-def: $vgpr9
                                        ; implicit-def: $vgpr2
                                        ; implicit-def: $vgpr10
	s_delay_alu instid0(VALU_DEP_1)
	v_cmpx_lt_i32_e32 -1, v11
	s_xor_b32 s49, exec_lo, s49
	s_cbranch_execnz .LBB26_13
; %bb.10:                               ;   in Loop: Header=BB26_9 Depth=3
	s_and_not1_saveexec_b32 s49, s49
	s_cbranch_execnz .LBB26_14
.LBB26_11:                              ;   in Loop: Header=BB26_9 Depth=3
	s_or_b32 exec_lo, exec_lo, s49
	v_mov_b32_e32 v11, 1
	s_and_saveexec_b32 s49, s48
	s_cbranch_execnz .LBB26_15
.LBB26_12:                              ;   in Loop: Header=BB26_9 Depth=3
	s_or_b32 exec_lo, exec_lo, s49
	s_delay_alu instid0(SALU_CYCLE_1)
	s_and_not1_b32 vcc_lo, exec_lo, s51
	s_cbranch_vccz .LBB26_16
	s_branch .LBB26_8
.LBB26_13:                              ;   in Loop: Header=BB26_9 Depth=3
	v_sub_nc_u32_e32 v2, 0, v11
	s_delay_alu instid0(VALU_DEP_1) | instskip(NEXT) | instid1(VALU_DEP_1)
	v_max_i32_e32 v2, v11, v2
	v_mul_u64_e32 v[8:9], s[10:11], v[2:3]
	s_delay_alu instid0(VALU_DEP_1) | instskip(NEXT) | instid1(VALU_DEP_1)
	v_mul_lo_u32 v8, v9, s53
	v_dual_sub_nc_u32 v2, v2, v8 :: v_dual_ashrrev_i32 v8, 31, v11
	s_delay_alu instid0(VALU_DEP_1) | instskip(SKIP_1) | instid1(VALU_DEP_2)
	v_subrev_nc_u32_e32 v10, s53, v2
	v_cmp_le_u32_e32 vcc_lo, s53, v2
	v_cndmask_b32_e32 v14, v2, v10, vcc_lo
	s_delay_alu instid0(VALU_DEP_1) | instskip(SKIP_1) | instid1(VALU_DEP_2)
	v_subrev_nc_u32_e32 v15, s53, v14
	v_cmp_le_u32_e32 vcc_lo, s53, v14
	v_cndmask_b32_e32 v11, v14, v15, vcc_lo
	s_delay_alu instid0(VALU_DEP_1) | instskip(NEXT) | instid1(VALU_DEP_1)
	v_xor_b32_e32 v11, v11, v8
	v_sub_nc_u32_e32 v11, v11, v8
	s_delay_alu instid0(VALU_DEP_1)
	v_cmp_ne_u32_e32 vcc_lo, 0, v11
                                        ; implicit-def: $vgpr11
	s_and_b32 s48, vcc_lo, exec_lo
	s_and_not1_saveexec_b32 s49, s49
	s_cbranch_execz .LBB26_11
.LBB26_14:                              ;   in Loop: Header=BB26_9 Depth=3
	v_sub_nc_u32_e32 v2, 0, v11
	s_or_b32 s48, s48, exec_lo
	s_delay_alu instid0(VALU_DEP_1) | instskip(NEXT) | instid1(VALU_DEP_1)
	v_max_i32_e32 v2, v11, v2
	v_mul_u64_e32 v[8:9], s[10:11], v[2:3]
	s_delay_alu instid0(VALU_DEP_1) | instskip(NEXT) | instid1(VALU_DEP_1)
	v_mul_lo_u32 v8, v9, s53
	v_dual_sub_nc_u32 v2, v2, v8 :: v_dual_ashrrev_i32 v8, 31, v11
	s_delay_alu instid0(VALU_DEP_1)
	v_subrev_nc_u32_e32 v10, s53, v2
	s_or_b32 exec_lo, exec_lo, s49
	v_mov_b32_e32 v11, 1
	s_and_saveexec_b32 s49, s48
	s_cbranch_execz .LBB26_12
.LBB26_15:                              ;   in Loop: Header=BB26_9 Depth=3
	v_mov_b32_e32 v11, 0
	s_or_b32 exec_lo, exec_lo, s49
	s_delay_alu instid0(SALU_CYCLE_1)
	s_and_not1_b32 vcc_lo, exec_lo, s51
	s_cbranch_vccnz .LBB26_8
.LBB26_16:                              ;   in Loop: Header=BB26_9 Depth=3
	v_cmp_le_u32_e32 vcc_lo, s53, v2
	v_add_nc_u32_e32 v14, 1, v9
	s_mov_b64 s[48:49], s[46:47]
	s_mov_b32 s57, s18
	v_dual_cndmask_b32 v2, v2, v10, vcc_lo :: v_dual_bitop2_b32 v8, s56, v8 bitop3:0x14
	s_delay_alu instid0(VALU_DEP_2) | instskip(NEXT) | instid1(VALU_DEP_2)
	v_cndmask_b32_e32 v9, v9, v14, vcc_lo
	v_cmp_le_u32_e32 vcc_lo, s53, v2
	s_delay_alu instid0(VALU_DEP_2) | instskip(NEXT) | instid1(VALU_DEP_1)
	v_add_nc_u32_e32 v10, 1, v9
	v_cndmask_b32_e32 v2, v9, v10, vcc_lo
	s_delay_alu instid0(VALU_DEP_1) | instskip(NEXT) | instid1(VALU_DEP_1)
	v_xor_b32_e32 v2, v2, v8
	v_sub_nc_u32_e32 v8, v2, v8
	s_delay_alu instid0(VALU_DEP_1) | instskip(SKIP_1) | instid1(VALU_DEP_2)
	v_ashrrev_i32_e32 v9, 31, v8
	v_cmp_gt_i32_e32 vcc_lo, s30, v8
	v_add_nc_u64_e32 v[14:15], s[44:45], v[8:9]
	s_delay_alu instid0(VALU_DEP_1) | instskip(SKIP_1) | instid1(VALU_DEP_2)
	v_mul_u64_e32 v[16:17], s[8:9], v[14:15]
	v_dual_cndmask_b32 v14, 0, v11 :: v_dual_mov_b32 v15, v13
	v_lshl_add_u64 v[8:9], v[16:17], 1, s[4:5]
	s_branch .LBB26_18
.LBB26_17:                              ;   in Loop: Header=BB26_18 Depth=4
	s_wait_xcnt 0x0
	s_or_b32 exec_lo, exec_lo, s58
	v_subrev_nc_u32_e32 v15, s14, v15
	s_add_co_i32 s57, s57, -1
	s_add_nc_u64 s[48:49], s[48:49], 2
	s_cmp_eq_u32 s57, 0
	s_cbranch_scc1 .LBB26_8
.LBB26_18:                              ;   Parent Loop BB26_3 Depth=1
                                        ;     Parent Loop BB26_6 Depth=2
                                        ;       Parent Loop BB26_9 Depth=3
                                        ; =>      This Inner Loop Header: Depth=4
	s_delay_alu instid0(VALU_DEP_2)
	v_sub_nc_u32_e32 v17, 0, v15
	s_mov_b32 s58, 0
	s_mov_b32 s59, exec_lo
                                        ; implicit-def: $vgpr10
                                        ; implicit-def: $vgpr11
                                        ; implicit-def: $vgpr2
                                        ; implicit-def: $vgpr16
	v_cmpx_lt_i32_e32 -1, v15
	s_xor_b32 s59, exec_lo, s59
	s_cbranch_execnz .LBB26_24
; %bb.19:                               ;   in Loop: Header=BB26_18 Depth=4
	s_and_not1_saveexec_b32 s59, s59
	s_cbranch_execnz .LBB26_25
.LBB26_20:                              ;   in Loop: Header=BB26_18 Depth=4
	s_or_b32 exec_lo, exec_lo, s59
	v_mov_b32_e32 v17, 1
	s_and_saveexec_b32 s59, s58
.LBB26_21:                              ;   in Loop: Header=BB26_18 Depth=4
	v_mov_b32_e32 v17, 0
.LBB26_22:                              ;   in Loop: Header=BB26_18 Depth=4
	s_or_b32 exec_lo, exec_lo, s59
	v_cmp_le_u32_e32 vcc_lo, s17, v2
	v_add_nc_u32_e32 v18, 1, v11
	s_mov_b32 s58, exec_lo
	v_dual_cndmask_b32 v2, v2, v16, vcc_lo :: v_dual_bitop2_b32 v10, s12, v10 bitop3:0x14
	s_delay_alu instid0(VALU_DEP_2) | instskip(NEXT) | instid1(VALU_DEP_2)
	v_cndmask_b32_e32 v11, v11, v18, vcc_lo
	v_cmp_le_u32_e32 vcc_lo, s17, v2
	s_delay_alu instid0(VALU_DEP_2) | instskip(NEXT) | instid1(VALU_DEP_1)
	v_add_nc_u32_e32 v16, 1, v11
	v_cndmask_b32_e32 v2, v11, v16, vcc_lo
	s_delay_alu instid0(VALU_DEP_1) | instskip(NEXT) | instid1(VALU_DEP_1)
	v_xor_b32_e32 v2, v2, v10
	v_sub_nc_u32_e32 v10, v2, v10
	s_delay_alu instid0(VALU_DEP_1) | instskip(SKIP_1) | instid1(VALU_DEP_1)
	v_cmp_gt_i32_e32 vcc_lo, s8, v10
	v_cndmask_b32_e32 v2, 0, v17, vcc_lo
	v_and_b32_e32 v2, v2, v14
	s_delay_alu instid0(VALU_DEP_1) | instskip(NEXT) | instid1(VALU_DEP_1)
	v_and_b32_e32 v2, 1, v2
	v_cmpx_eq_u32_e32 1, v2
	s_cbranch_execz .LBB26_17
; %bb.23:                               ;   in Loop: Header=BB26_18 Depth=4
	v_ashrrev_i32_e32 v11, 31, v10
	s_delay_alu instid0(VALU_DEP_1)
	v_lshl_add_u64 v[10:11], v[10:11], 1, v[8:9]
	global_load_u16 v2, v[10:11], off
	global_load_u16 v10, v3, s[48:49]
	s_wait_loadcnt 0x1
	v_cvt_f32_f16_e32 v2, v2
	s_wait_loadcnt 0x0
	v_cvt_f32_f16_e32 v16, v10
	s_delay_alu instid0(VALU_DEP_2) | instskip(NEXT) | instid1(VALU_DEP_2)
	v_cvt_f64_f32_e32 v[10:11], v2
	v_cvt_f64_f32_e32 v[16:17], v16
	s_delay_alu instid0(VALU_DEP_1)
	v_fmac_f64_e32 v[4:5], v[10:11], v[16:17]
	s_branch .LBB26_17
.LBB26_24:                              ;   in Loop: Header=BB26_18 Depth=4
	v_max_i32_e32 v2, v15, v17
	s_delay_alu instid0(VALU_DEP_1) | instskip(NEXT) | instid1(VALU_DEP_1)
	v_mul_u64_e32 v[10:11], s[36:37], v[2:3]
	v_mul_lo_u32 v10, v11, s17
	s_delay_alu instid0(VALU_DEP_1) | instskip(NEXT) | instid1(VALU_DEP_1)
	v_dual_sub_nc_u32 v2, v2, v10 :: v_dual_ashrrev_i32 v10, 31, v15
	v_subrev_nc_u32_e32 v16, s17, v2
	v_cmp_le_u32_e32 vcc_lo, s17, v2
	s_delay_alu instid0(VALU_DEP_2) | instskip(NEXT) | instid1(VALU_DEP_1)
	v_cndmask_b32_e32 v17, v2, v16, vcc_lo
	v_subrev_nc_u32_e32 v18, s17, v17
	v_cmp_le_u32_e32 vcc_lo, s17, v17
	s_delay_alu instid0(VALU_DEP_2) | instskip(NEXT) | instid1(VALU_DEP_1)
	v_cndmask_b32_e32 v17, v17, v18, vcc_lo
	v_xor_b32_e32 v17, v17, v10
	s_delay_alu instid0(VALU_DEP_1) | instskip(NEXT) | instid1(VALU_DEP_1)
	v_sub_nc_u32_e32 v17, v17, v10
	v_cmp_ne_u32_e32 vcc_lo, 0, v17
                                        ; implicit-def: $vgpr17
	s_and_b32 s58, vcc_lo, exec_lo
	s_and_not1_saveexec_b32 s59, s59
	s_cbranch_execz .LBB26_20
.LBB26_25:                              ;   in Loop: Header=BB26_18 Depth=4
	v_max_i32_e32 v2, v15, v17
	s_or_b32 s58, s58, exec_lo
	s_delay_alu instid0(VALU_DEP_1) | instskip(NEXT) | instid1(VALU_DEP_1)
	v_mul_u64_e32 v[10:11], s[36:37], v[2:3]
	v_mul_lo_u32 v10, v11, s17
	s_delay_alu instid0(VALU_DEP_1) | instskip(NEXT) | instid1(VALU_DEP_1)
	v_dual_sub_nc_u32 v2, v2, v10 :: v_dual_ashrrev_i32 v10, 31, v15
	v_subrev_nc_u32_e32 v16, s17, v2
	s_or_b32 exec_lo, exec_lo, s59
	v_mov_b32_e32 v17, 1
	s_and_saveexec_b32 s59, s58
	s_cbranch_execnz .LBB26_21
	s_branch .LBB26_22
.LBB26_26:                              ;   in Loop: Header=BB26_3 Depth=1
	s_delay_alu instid0(VALU_DEP_1) | instskip(SKIP_2) | instid1(VALU_DEP_1)
	v_ashrrev_i32_e32 v7, 31, v6
	s_and_b32 vcc_lo, exec_lo, s54
	s_mov_b32 s2, -1
	v_mad_nc_i64_i32 v[6:7], v12, s28, v[6:7]
	s_cbranch_vccz .LBB26_28
; %bb.27:                               ;   in Loop: Header=BB26_3 Depth=1
	s_delay_alu instid0(VALU_DEP_1) | instskip(SKIP_4) | instid1(VALU_DEP_1)
	v_lshl_add_u64 v[8:9], v[6:7], 1, s[0:1]
	s_mov_b32 s2, 0
	global_load_u16 v2, v[8:9], off
	s_wait_loadcnt 0x0
	v_cvt_f32_f16_e32 v2, v2
	v_cvt_f64_f32_e32 v[10:11], v2
	s_delay_alu instid0(VALU_DEP_1) | instskip(NEXT) | instid1(VALU_DEP_1)
	v_mul_f64_e32 v[10:11], s[26:27], v[10:11]
	v_fmac_f64_e32 v[10:11], s[24:25], v[4:5]
	s_delay_alu instid0(VALU_DEP_1) | instskip(SKIP_2) | instid1(VALU_DEP_3)
	v_and_or_b32 v2, 0x1ff, v11, v10
	v_lshrrev_b32_e32 v10, 8, v11
	v_bfe_u32 v12, v11, 20, 11
	v_cmp_ne_u32_e32 vcc_lo, 0, v2
	s_delay_alu instid0(VALU_DEP_2) | instskip(SKIP_2) | instid1(VALU_DEP_1)
	v_sub_nc_u32_e32 v13, 0x3f1, v12
	v_add_nc_u32_e32 v12, 0xfffffc10, v12
	v_cndmask_b32_e64 v2, 0, 1, vcc_lo
	v_and_or_b32 v2, 0xffe, v10, v2
	s_delay_alu instid0(VALU_DEP_4) | instskip(NEXT) | instid1(VALU_DEP_2)
	v_med3_i32 v10, v13, 0, 13
	v_or_b32_e32 v13, 0x1000, v2
	s_delay_alu instid0(VALU_DEP_1) | instskip(NEXT) | instid1(VALU_DEP_1)
	v_lshrrev_b32_e32 v14, v10, v13
	v_lshlrev_b32_e32 v10, v10, v14
	s_delay_alu instid0(VALU_DEP_1) | instskip(SKIP_3) | instid1(VALU_DEP_2)
	v_cmp_ne_u32_e32 vcc_lo, v10, v13
	v_lshl_or_b32 v13, v12, 12, v2
	v_cndmask_b32_e64 v10, 0, 1, vcc_lo
	v_cmp_gt_i32_e32 vcc_lo, 1, v12
	v_or_b32_e32 v10, v14, v10
	s_delay_alu instid0(VALU_DEP_1) | instskip(NEXT) | instid1(VALU_DEP_1)
	v_cndmask_b32_e32 v10, v13, v10, vcc_lo
	v_dual_lshrrev_b32 v10, 2, v10 :: v_dual_bitop2_b32 v13, 7, v10 bitop3:0x40
	s_delay_alu instid0(VALU_DEP_1) | instskip(SKIP_4) | instid1(VALU_DEP_2)
	v_cmp_lt_i32_e32 vcc_lo, 5, v13
	v_cndmask_b32_e64 v14, 0, 1, vcc_lo
	v_cmp_eq_u32_e32 vcc_lo, 3, v13
	v_cndmask_b32_e64 v13, 0, 1, vcc_lo
	v_cmp_ne_u32_e32 vcc_lo, 0, v2
	v_or_b32_e32 v13, v13, v14
	v_cndmask_b32_e32 v2, 0x7c00, v1, vcc_lo
	v_cmp_gt_i32_e32 vcc_lo, 31, v12
	s_delay_alu instid0(VALU_DEP_3) | instskip(NEXT) | instid1(VALU_DEP_1)
	v_add_nc_u32_e32 v10, v10, v13
	v_cndmask_b32_e32 v10, 0x7c00, v10, vcc_lo
	v_cmp_eq_u32_e32 vcc_lo, 0x40f, v12
	s_delay_alu instid0(VALU_DEP_2) | instskip(NEXT) | instid1(VALU_DEP_1)
	v_dual_cndmask_b32 v2, v10, v2, vcc_lo :: v_dual_lshrrev_b32 v10, 16, v11
	v_and_or_b32 v2, 0x8000, v10, v2
	global_store_b16 v[8:9], v2, off
.LBB26_28:                              ;   in Loop: Header=BB26_3 Depth=1
	s_and_not1_b32 vcc_lo, exec_lo, s2
	s_cbranch_vccnz .LBB26_2
; %bb.29:                               ;   in Loop: Header=BB26_3 Depth=1
	s_wait_xcnt 0x0
	s_delay_alu instid0(VALU_DEP_4) | instskip(SKIP_3) | instid1(VALU_DEP_4)
	v_and_or_b32 v2, 0x1ff, v5, v4
	v_lshrrev_b32_e32 v4, 8, v5
	v_bfe_u32 v8, v5, 20, 11
	v_lshrrev_b32_e32 v5, 16, v5
	v_cmp_ne_u32_e32 vcc_lo, 0, v2
	s_delay_alu instid0(VALU_DEP_3) | instskip(SKIP_2) | instid1(VALU_DEP_1)
	v_sub_nc_u32_e32 v9, 0x3f1, v8
	v_add_nc_u32_e32 v8, 0xfffffc10, v8
	v_cndmask_b32_e64 v2, 0, 1, vcc_lo
	v_and_or_b32 v2, 0xffe, v4, v2
	s_delay_alu instid0(VALU_DEP_4) | instskip(NEXT) | instid1(VALU_DEP_2)
	v_med3_i32 v4, v9, 0, 13
	v_or_b32_e32 v9, 0x1000, v2
	s_delay_alu instid0(VALU_DEP_1) | instskip(NEXT) | instid1(VALU_DEP_1)
	v_lshrrev_b32_e32 v10, v4, v9
	v_lshlrev_b32_e32 v4, v4, v10
	s_delay_alu instid0(VALU_DEP_1) | instskip(SKIP_3) | instid1(VALU_DEP_2)
	v_cmp_ne_u32_e32 vcc_lo, v4, v9
	v_lshl_or_b32 v9, v8, 12, v2
	v_cndmask_b32_e64 v4, 0, 1, vcc_lo
	v_cmp_gt_i32_e32 vcc_lo, 1, v8
	v_or_b32_e32 v4, v10, v4
	s_delay_alu instid0(VALU_DEP_1) | instskip(NEXT) | instid1(VALU_DEP_1)
	v_cndmask_b32_e32 v4, v9, v4, vcc_lo
	v_dual_lshrrev_b32 v4, 2, v4 :: v_dual_bitop2_b32 v9, 7, v4 bitop3:0x40
	s_delay_alu instid0(VALU_DEP_1) | instskip(SKIP_4) | instid1(VALU_DEP_2)
	v_cmp_lt_i32_e32 vcc_lo, 5, v9
	v_cndmask_b32_e64 v10, 0, 1, vcc_lo
	v_cmp_eq_u32_e32 vcc_lo, 3, v9
	v_cndmask_b32_e64 v9, 0, 1, vcc_lo
	v_cmp_ne_u32_e32 vcc_lo, 0, v2
	v_or_b32_e32 v9, v9, v10
	v_cndmask_b32_e32 v2, 0x7c00, v1, vcc_lo
	v_cmp_gt_i32_e32 vcc_lo, 31, v8
	s_delay_alu instid0(VALU_DEP_3) | instskip(NEXT) | instid1(VALU_DEP_1)
	v_add_nc_u32_e32 v4, v4, v9
	v_cndmask_b32_e32 v4, 0x7c00, v4, vcc_lo
	v_cmp_eq_u32_e32 vcc_lo, 0x40f, v8
	s_delay_alu instid0(VALU_DEP_2) | instskip(NEXT) | instid1(VALU_DEP_1)
	v_cndmask_b32_e32 v2, v4, v2, vcc_lo
	v_and_or_b32 v2, 0x8000, v5, v2
	v_lshl_add_u64 v[4:5], v[6:7], 1, s[0:1]
	global_store_b16 v[4:5], v2, off
	s_branch .LBB26_2
.LBB26_30:
	s_endpgm
	.section	.rodata,"a",@progbits
	.p2align	6, 0x0
	.amdhsa_kernel naive_conv_ab_packed_bwd_nchw_half_double_half
		.amdhsa_group_segment_fixed_size 0
		.amdhsa_private_segment_fixed_size 0
		.amdhsa_kernarg_size 480
		.amdhsa_user_sgpr_count 2
		.amdhsa_user_sgpr_dispatch_ptr 0
		.amdhsa_user_sgpr_queue_ptr 0
		.amdhsa_user_sgpr_kernarg_segment_ptr 1
		.amdhsa_user_sgpr_dispatch_id 0
		.amdhsa_user_sgpr_kernarg_preload_length 0
		.amdhsa_user_sgpr_kernarg_preload_offset 0
		.amdhsa_user_sgpr_private_segment_size 0
		.amdhsa_wavefront_size32 1
		.amdhsa_uses_dynamic_stack 0
		.amdhsa_enable_private_segment 0
		.amdhsa_system_sgpr_workgroup_id_x 1
		.amdhsa_system_sgpr_workgroup_id_y 0
		.amdhsa_system_sgpr_workgroup_id_z 0
		.amdhsa_system_sgpr_workgroup_info 0
		.amdhsa_system_vgpr_workitem_id 0
		.amdhsa_next_free_vgpr 19
		.amdhsa_next_free_sgpr 60
		.amdhsa_named_barrier_count 0
		.amdhsa_reserve_vcc 1
		.amdhsa_float_round_mode_32 0
		.amdhsa_float_round_mode_16_64 0
		.amdhsa_float_denorm_mode_32 3
		.amdhsa_float_denorm_mode_16_64 3
		.amdhsa_fp16_overflow 0
		.amdhsa_memory_ordered 1
		.amdhsa_forward_progress 1
		.amdhsa_inst_pref_size 21
		.amdhsa_round_robin_scheduling 0
		.amdhsa_exception_fp_ieee_invalid_op 0
		.amdhsa_exception_fp_denorm_src 0
		.amdhsa_exception_fp_ieee_div_zero 0
		.amdhsa_exception_fp_ieee_overflow 0
		.amdhsa_exception_fp_ieee_underflow 0
		.amdhsa_exception_fp_ieee_inexact 0
		.amdhsa_exception_int_div_zero 0
	.end_amdhsa_kernel
	.text
.Lfunc_end26:
	.size	naive_conv_ab_packed_bwd_nchw_half_double_half, .Lfunc_end26-naive_conv_ab_packed_bwd_nchw_half_double_half
                                        ; -- End function
	.set naive_conv_ab_packed_bwd_nchw_half_double_half.num_vgpr, 19
	.set naive_conv_ab_packed_bwd_nchw_half_double_half.num_agpr, 0
	.set naive_conv_ab_packed_bwd_nchw_half_double_half.numbered_sgpr, 60
	.set naive_conv_ab_packed_bwd_nchw_half_double_half.num_named_barrier, 0
	.set naive_conv_ab_packed_bwd_nchw_half_double_half.private_seg_size, 0
	.set naive_conv_ab_packed_bwd_nchw_half_double_half.uses_vcc, 1
	.set naive_conv_ab_packed_bwd_nchw_half_double_half.uses_flat_scratch, 0
	.set naive_conv_ab_packed_bwd_nchw_half_double_half.has_dyn_sized_stack, 0
	.set naive_conv_ab_packed_bwd_nchw_half_double_half.has_recursion, 0
	.set naive_conv_ab_packed_bwd_nchw_half_double_half.has_indirect_call, 0
	.section	.AMDGPU.csdata,"",@progbits
; Kernel info:
; codeLenInByte = 2576
; TotalNumSgprs: 62
; NumVgprs: 19
; ScratchSize: 0
; MemoryBound: 0
; FloatMode: 240
; IeeeMode: 1
; LDSByteSize: 0 bytes/workgroup (compile time only)
; SGPRBlocks: 0
; VGPRBlocks: 1
; NumSGPRsForWavesPerEU: 62
; NumVGPRsForWavesPerEU: 19
; NamedBarCnt: 0
; Occupancy: 16
; WaveLimiterHint : 0
; COMPUTE_PGM_RSRC2:SCRATCH_EN: 0
; COMPUTE_PGM_RSRC2:USER_SGPR: 2
; COMPUTE_PGM_RSRC2:TRAP_HANDLER: 0
; COMPUTE_PGM_RSRC2:TGID_X_EN: 1
; COMPUTE_PGM_RSRC2:TGID_Y_EN: 0
; COMPUTE_PGM_RSRC2:TGID_Z_EN: 0
; COMPUTE_PGM_RSRC2:TIDIG_COMP_CNT: 0
	.text
	.protected	naive_conv_ab_nonpacked_bwd_nchw_half_double_half ; -- Begin function naive_conv_ab_nonpacked_bwd_nchw_half_double_half
	.globl	naive_conv_ab_nonpacked_bwd_nchw_half_double_half
	.p2align	8
	.type	naive_conv_ab_nonpacked_bwd_nchw_half_double_half,@function
naive_conv_ab_nonpacked_bwd_nchw_half_double_half: ; @naive_conv_ab_nonpacked_bwd_nchw_half_double_half
; %bb.0:
	s_load_b256 s[20:27], s[0:1], 0xa0
	s_bfe_u32 s2, ttmp6, 0x4000c
	s_and_b32 s3, ttmp6, 15
	s_add_co_i32 s2, s2, 1
	s_getreg_b32 s4, hwreg(HW_REG_IB_STS2, 6, 4)
	s_mul_i32 s2, ttmp9, s2
	s_mov_b32 s10, exec_lo
	s_add_co_i32 s3, s3, s2
	s_cmp_eq_u32 s4, 0
	s_cselect_b32 s4, ttmp9, s3
	s_wait_kmcnt 0x0
	s_abs_i32 s3, s24
	s_mul_i32 s20, s21, s20
	s_cvt_f32_u32 s2, s3
	s_delay_alu instid0(SALU_CYCLE_3) | instskip(SKIP_1) | instid1(TRANS32_DEP_1)
	v_rcp_iflag_f32_e32 v1, s2
	v_nop
	v_readfirstlane_b32 s2, v1
	s_mul_f32 s2, s2, 0x4f7ffffe
	s_delay_alu instid0(SALU_CYCLE_3) | instskip(SKIP_1) | instid1(SALU_CYCLE_2)
	s_cvt_u32_f32 s5, s2
	s_sub_co_i32 s2, 0, s3
	s_mul_i32 s2, s2, s5
	s_delay_alu instid0(SALU_CYCLE_1) | instskip(SKIP_2) | instid1(SALU_CYCLE_1)
	s_mul_hi_u32 s6, s5, s2
	s_abs_i32 s2, s4
	s_add_co_i32 s5, s5, s6
	s_mul_hi_u32 s5, s2, s5
	s_delay_alu instid0(SALU_CYCLE_1) | instskip(SKIP_2) | instid1(SALU_CYCLE_1)
	s_mul_i32 s6, s5, s3
	s_add_co_i32 s7, s5, 1
	s_sub_co_i32 s6, s2, s6
	s_sub_co_i32 s8, s6, s3
	s_cmp_ge_u32 s6, s3
	s_cselect_b32 s5, s7, s5
	s_cselect_b32 s6, s8, s6
	s_add_co_i32 s7, s5, 1
	s_cmp_ge_u32 s6, s3
	s_mul_i32 s6, s24, s22
	s_cselect_b32 s8, s7, s5
	s_abs_i32 s5, s22
	s_abs_i32 s22, s6
	s_cvt_f32_u32 s3, s5
	s_cvt_f32_u32 s7, s22
	s_delay_alu instid0(SALU_CYCLE_2) | instskip(NEXT) | instid1(SALU_CYCLE_2)
	v_rcp_iflag_f32_e32 v1, s3
	v_rcp_iflag_f32_e32 v2, s7
	s_mov_b32 s3, 0
	s_delay_alu instid0(TRANS32_DEP_2) | instskip(NEXT) | instid1(TRANS32_DEP_1)
	v_readfirstlane_b32 s9, v1
	v_readfirstlane_b32 s7, v2
	v_cmpx_gt_i32_e64 s20, v0
	s_cbranch_execz .LBB27_30
; %bb.1:
	s_ashr_i32 s28, s4, 31
	s_ashr_i32 s10, s24, 31
	s_mul_f32 s9, s9, 0x4f7ffffe
	s_xor_b32 s10, s28, s10
	s_mul_f32 s7, s7, 0x4f7ffffe
	s_xor_b32 s8, s8, s10
	s_cvt_u32_f32 s9, s9
	s_sub_co_i32 s12, s8, s10
	s_sub_co_i32 s8, 0, s5
	s_cvt_u32_f32 s7, s7
	s_mul_i32 s8, s8, s9
	s_sub_co_i32 s13, 0, s22
	s_mul_hi_u32 s10, s9, s8
	s_abs_i32 s8, s12
	s_add_co_i32 s10, s9, s10
	s_mov_b32 s9, s3
	s_mov_b32 s11, s3
	s_mul_i32 s13, s13, s7
	s_mul_u64 s[10:11], s[8:9], s[10:11]
	s_mul_hi_u32 s9, s7, s13
	s_ashr_i32 s30, s6, 31
	s_add_co_i32 s6, s7, s9
	s_mul_i32 s7, s11, s5
	s_ashr_i32 s29, s12, 31
	s_mul_i32 s12, s12, s24
	s_sub_co_i32 s7, s8, s7
	s_sub_co_i32 s34, s4, s12
	;; [unrolled: 1-line block ×3, first 2 shown]
	s_cmp_ge_u32 s7, s5
	s_load_b256 s[36:43], s[0:1], 0x0
	s_cselect_b32 s4, s4, s7
	s_mov_b32 s7, s3
	s_sub_co_i32 s8, s4, s5
	s_cmp_ge_u32 s4, s5
	s_mul_u64 s[44:45], s[2:3], s[6:7]
	s_cselect_b32 s4, s8, s4
	s_xor_b32 s33, s28, s30
	s_xor_b32 s24, s4, s29
	s_load_b512 s[4:19], s[0:1], 0x28
	s_sub_co_i32 s52, s24, s29
	s_mul_i32 s24, s45, s22
	s_clause 0x1
	s_load_b64 s[54:55], s[0:1], 0x98
	s_load_b128 s[28:31], s[0:1], 0x88
	s_sub_co_i32 s2, s2, s24
	s_add_co_i32 s24, s45, 1
	s_sub_co_i32 s35, s2, s22
	s_cmp_ge_u32 s2, s22
	s_load_b64 s[66:67], s[0:1], 0x20
	s_cselect_b32 s24, s24, s45
	s_load_b256 s[44:51], s[0:1], 0xc0
	s_cselect_b32 s2, s35, s2
	s_add_co_i32 s35, s24, 1
	s_cmp_ge_u32 s2, s22
	s_wait_kmcnt 0x0
	v_cmp_neq_f64_e64 s68, s[42:43], 0
	s_cselect_b32 s2, s35, s24
	s_ashr_i32 s53, s52, 31
	s_xor_b32 s2, s2, s33
	s_ashr_i32 s35, s34, 31
	s_sub_co_i32 s60, s2, s33
	v_cmp_neq_f64_e64 s2, s[40:41], 1.0
	s_ashr_i32 s61, s60, 31
	s_mul_u64 s[12:13], s[12:13], s[52:53]
	s_mul_u64 s[10:11], s[10:11], s[60:61]
	;; [unrolled: 1-line block ×5, first 2 shown]
	s_lshl_b64 s[12:13], s[12:13], 1
	s_lshl_b64 s[10:11], s[10:11], 1
	;; [unrolled: 1-line block ×5, first 2 shown]
	s_cmp_gt_i32 s23, 0
	s_add_nc_u64 s[12:13], s[36:37], s[12:13]
	s_cselect_b32 s22, -1, 0
	s_cmp_gt_i32 s49, 0
	s_add_nc_u64 s[10:11], s[12:13], s[10:11]
	s_cselect_b32 s24, -1, 0
	s_cmp_gt_i32 s50, 0
	s_load_b32 s69, s[0:1], 0xec
	s_cselect_b32 s33, -1, 0
	s_abs_i32 s51, s21
	s_abs_i32 s62, s27
	s_cvt_f32_u32 s52, s51
	s_cvt_f32_u32 s13, s62
	s_abs_i32 s63, s44
	s_mul_u64 s[18:19], s[18:19], s[34:35]
	v_rcp_iflag_f32_e32 v1, s52
	s_load_b256 s[52:59], s[0:1], 0x68
	s_wait_xcnt 0x0
	s_add_nc_u64 s[0:1], s[10:11], s[8:9]
	s_cvt_f32_u32 s11, s63
	s_add_nc_u64 s[8:9], s[66:67], s[64:65]
	s_or_b32 s64, s2, s68
	s_add_nc_u64 s[8:9], s[8:9], s[30:31]
	v_nop
	v_readfirstlane_b32 s12, v1
	v_rcp_iflag_f32_e32 v1, s13
	s_lshl_b64 s[34:35], s[18:19], 1
	v_mov_b32_e32 v3, 0
	s_ashr_i32 s66, s21, 31
	s_mul_f32 s10, s12, 0x4f7ffffe
	s_wait_kmcnt 0x0
	s_and_b32 s65, s69, 0xffff
	s_ashr_i32 s27, s27, 31
	s_ashr_i32 s44, s44, 31
	s_cvt_u32_f32 s2, s10
	v_readfirstlane_b32 s10, v1
	v_rcp_iflag_f32_e32 v1, s11
	s_sub_co_i32 s11, 0, s51
	s_mov_b32 s19, s3
	s_mul_i32 s11, s11, s2
	s_mul_f32 s12, s10, 0x4f7ffffe
	s_mul_hi_u32 s10, s2, s11
	s_mul_u64 s[30:31], s[54:55], s[60:61]
	v_nop
	v_readfirstlane_b32 s13, v1
	s_add_co_i32 s10, s2, s10
	s_cvt_u32_f32 s2, s12
	s_sub_co_i32 s12, 0, s62
	s_lshl_b64 s[30:31], s[30:31], 1
	s_mul_f32 s13, s13, 0x4f7ffffe
	s_mul_i32 s12, s12, s2
	v_mov_b32_e32 v1, 0x7e00
	s_mul_hi_u32 s12, s2, s12
	s_cvt_u32_f32 s36, s13
	s_add_co_i32 s12, s2, s12
	s_sub_co_i32 s2, 0, s63
	s_add_nc_u64 s[30:31], s[34:35], s[30:31]
	s_mul_i32 s2, s2, s36
	s_mov_b32 s11, s3
	s_mul_hi_u32 s2, s36, s2
	s_mov_b32 s13, s3
	s_add_co_i32 s18, s36, s2
	s_add_nc_u64 s[30:31], s[38:39], s[30:31]
	s_lshl_b64 s[34:35], s[52:53], 1
	s_lshl_b64 s[16:17], s[16:17], 1
	;; [unrolled: 1-line block ×3, first 2 shown]
	s_mov_b32 s60, 0
	s_branch .LBB27_3
.LBB27_2:                               ;   in Loop: Header=BB27_3 Depth=1
	v_add_nc_u32_e32 v0, s65, v0
	s_delay_alu instid0(VALU_DEP_1)
	v_cmp_le_i32_e32 vcc_lo, s20, v0
	s_or_b32 s60, vcc_lo, s60
	s_wait_xcnt 0x0
	s_and_not1_b32 exec_lo, exec_lo, s60
	s_cbranch_execz .LBB27_30
.LBB27_3:                               ; =>This Loop Header: Depth=1
                                        ;     Child Loop BB27_6 Depth 2
                                        ;       Child Loop BB27_9 Depth 3
                                        ;         Child Loop BB27_18 Depth 4
	v_sub_nc_u32_e32 v2, 0, v0
	s_delay_alu instid0(VALU_DEP_1) | instskip(NEXT) | instid1(VALU_DEP_1)
	v_max_i32_e32 v2, v0, v2
	v_mul_u64_e32 v[4:5], s[10:11], v[2:3]
	s_delay_alu instid0(VALU_DEP_1) | instskip(NEXT) | instid1(VALU_DEP_1)
	v_mul_lo_u32 v4, v5, s51
	v_dual_sub_nc_u32 v2, v2, v4 :: v_dual_add_nc_u32 v4, 1, v5
	s_delay_alu instid0(VALU_DEP_1) | instskip(SKIP_1) | instid1(VALU_DEP_3)
	v_subrev_nc_u32_e32 v6, s51, v2
	v_cmp_le_u32_e32 vcc_lo, s51, v2
	v_cndmask_b32_e32 v4, v5, v4, vcc_lo
	s_delay_alu instid0(VALU_DEP_3) | instskip(NEXT) | instid1(VALU_DEP_2)
	v_dual_cndmask_b32 v2, v2, v6 :: v_dual_ashrrev_i32 v5, 31, v0
	v_add_nc_u32_e32 v6, 1, v4
	s_delay_alu instid0(VALU_DEP_2) | instskip(NEXT) | instid1(VALU_DEP_2)
	v_cmp_le_u32_e32 vcc_lo, s51, v2
	v_dual_cndmask_b32 v2, v4, v6, vcc_lo :: v_dual_bitop2_b32 v5, s66, v5 bitop3:0x14
	s_and_not1_b32 vcc_lo, exec_lo, s22
	s_delay_alu instid0(VALU_DEP_1) | instskip(NEXT) | instid1(VALU_DEP_1)
	v_xor_b32_e32 v2, v2, v5
	v_sub_nc_u32_e32 v6, v2, v5
	v_mov_b64_e32 v[4:5], 0
	s_delay_alu instid0(VALU_DEP_2) | instskip(NEXT) | instid1(VALU_DEP_1)
	v_mul_lo_u32 v2, v6, s21
	v_sub_nc_u32_e32 v12, v0, v2
	s_cbranch_vccnz .LBB27_26
; %bb.4:                                ;   in Loop: Header=BB27_3 Depth=1
	s_delay_alu instid0(VALU_DEP_1)
	v_dual_add_nc_u32 v7, s47, v6 :: v_dual_add_nc_u32 v13, s48, v12
	s_mov_b32 s2, 0
	s_mov_b64 s[36:37], s[30:31]
	s_branch .LBB27_6
.LBB27_5:                               ;   in Loop: Header=BB27_6 Depth=2
	s_add_co_i32 s2, s2, 1
	s_add_nc_u64 s[36:37], s[36:37], s[34:35]
	s_cmp_eq_u32 s2, s23
	s_cbranch_scc1 .LBB27_26
.LBB27_6:                               ;   Parent Loop BB27_3 Depth=1
                                        ; =>  This Loop Header: Depth=2
                                        ;       Child Loop BB27_9 Depth 3
                                        ;         Child Loop BB27_18 Depth 4
	s_and_not1_b32 vcc_lo, exec_lo, s24
	s_cbranch_vccnz .LBB27_5
; %bb.7:                                ;   in Loop: Header=BB27_6 Depth=2
	s_mul_u64 s[38:39], s[28:29], s[2:3]
	s_mov_b32 s61, 0
	s_lshl_b64 s[38:39], s[38:39], 1
	s_mov_b64 s[52:53], s[36:37]
	s_add_nc_u64 s[38:39], s[8:9], s[38:39]
	s_branch .LBB27_9
.LBB27_8:                               ;   in Loop: Header=BB27_9 Depth=3
	s_add_co_i32 s61, s61, 1
	s_add_nc_u64 s[52:53], s[52:53], s[16:17]
	s_cmp_eq_u32 s61, s49
	s_cbranch_scc1 .LBB27_5
.LBB27_9:                               ;   Parent Loop BB27_3 Depth=1
                                        ;     Parent Loop BB27_6 Depth=2
                                        ; =>    This Loop Header: Depth=3
                                        ;         Child Loop BB27_18 Depth 4
	s_mul_i32 s54, s45, s61
	s_mov_b32 s55, exec_lo
	v_subrev_nc_u32_e32 v11, s54, v7
	s_mov_b32 s54, 0
                                        ; implicit-def: $vgpr8
                                        ; implicit-def: $vgpr9
                                        ; implicit-def: $vgpr2
                                        ; implicit-def: $vgpr10
	s_delay_alu instid0(VALU_DEP_1)
	v_cmpx_lt_i32_e32 -1, v11
	s_xor_b32 s55, exec_lo, s55
	s_cbranch_execnz .LBB27_13
; %bb.10:                               ;   in Loop: Header=BB27_9 Depth=3
	s_and_not1_saveexec_b32 s55, s55
	s_cbranch_execnz .LBB27_14
.LBB27_11:                              ;   in Loop: Header=BB27_9 Depth=3
	s_or_b32 exec_lo, exec_lo, s55
	v_mov_b32_e32 v11, 1
	s_and_saveexec_b32 s55, s54
	s_cbranch_execnz .LBB27_15
.LBB27_12:                              ;   in Loop: Header=BB27_9 Depth=3
	s_or_b32 exec_lo, exec_lo, s55
	s_delay_alu instid0(SALU_CYCLE_1)
	s_and_not1_b32 vcc_lo, exec_lo, s33
	s_cbranch_vccz .LBB27_16
	s_branch .LBB27_8
.LBB27_13:                              ;   in Loop: Header=BB27_9 Depth=3
	v_sub_nc_u32_e32 v2, 0, v11
	s_delay_alu instid0(VALU_DEP_1) | instskip(NEXT) | instid1(VALU_DEP_1)
	v_max_i32_e32 v2, v11, v2
	v_mul_u64_e32 v[8:9], s[12:13], v[2:3]
	s_delay_alu instid0(VALU_DEP_1) | instskip(NEXT) | instid1(VALU_DEP_1)
	v_mul_lo_u32 v8, v9, s62
	v_dual_sub_nc_u32 v2, v2, v8 :: v_dual_ashrrev_i32 v8, 31, v11
	s_delay_alu instid0(VALU_DEP_1) | instskip(SKIP_1) | instid1(VALU_DEP_2)
	v_subrev_nc_u32_e32 v10, s62, v2
	v_cmp_le_u32_e32 vcc_lo, s62, v2
	v_cndmask_b32_e32 v14, v2, v10, vcc_lo
	s_delay_alu instid0(VALU_DEP_1) | instskip(SKIP_1) | instid1(VALU_DEP_2)
	v_subrev_nc_u32_e32 v15, s62, v14
	v_cmp_le_u32_e32 vcc_lo, s62, v14
	v_cndmask_b32_e32 v11, v14, v15, vcc_lo
	s_delay_alu instid0(VALU_DEP_1) | instskip(NEXT) | instid1(VALU_DEP_1)
	v_xor_b32_e32 v11, v11, v8
	v_sub_nc_u32_e32 v11, v11, v8
	s_delay_alu instid0(VALU_DEP_1)
	v_cmp_ne_u32_e32 vcc_lo, 0, v11
                                        ; implicit-def: $vgpr11
	s_and_b32 s54, vcc_lo, exec_lo
	s_and_not1_saveexec_b32 s55, s55
	s_cbranch_execz .LBB27_11
.LBB27_14:                              ;   in Loop: Header=BB27_9 Depth=3
	v_sub_nc_u32_e32 v2, 0, v11
	s_or_b32 s54, s54, exec_lo
	s_delay_alu instid0(VALU_DEP_1) | instskip(NEXT) | instid1(VALU_DEP_1)
	v_max_i32_e32 v2, v11, v2
	v_mul_u64_e32 v[8:9], s[12:13], v[2:3]
	s_delay_alu instid0(VALU_DEP_1) | instskip(NEXT) | instid1(VALU_DEP_1)
	v_mul_lo_u32 v8, v9, s62
	v_dual_sub_nc_u32 v2, v2, v8 :: v_dual_ashrrev_i32 v8, 31, v11
	s_delay_alu instid0(VALU_DEP_1)
	v_subrev_nc_u32_e32 v10, s62, v2
	s_or_b32 exec_lo, exec_lo, s55
	v_mov_b32_e32 v11, 1
	s_and_saveexec_b32 s55, s54
	s_cbranch_execz .LBB27_12
.LBB27_15:                              ;   in Loop: Header=BB27_9 Depth=3
	v_mov_b32_e32 v11, 0
	s_or_b32 exec_lo, exec_lo, s55
	s_delay_alu instid0(SALU_CYCLE_1)
	s_and_not1_b32 vcc_lo, exec_lo, s33
	s_cbranch_vccnz .LBB27_8
.LBB27_16:                              ;   in Loop: Header=BB27_9 Depth=3
	v_cmp_le_u32_e32 vcc_lo, s62, v2
	v_dual_mov_b32 v15, v13 :: v_dual_add_nc_u32 v14, 1, v9
	s_mov_b64 s[54:55], s[52:53]
	s_mov_b32 s67, s50
	v_cndmask_b32_e32 v2, v2, v10, vcc_lo
	s_delay_alu instid0(VALU_DEP_2) | instskip(NEXT) | instid1(VALU_DEP_2)
	v_dual_cndmask_b32 v9, v9, v14, vcc_lo :: v_dual_bitop2_b32 v8, s27, v8 bitop3:0x14
	v_cmp_le_u32_e32 vcc_lo, s62, v2
	s_delay_alu instid0(VALU_DEP_2) | instskip(NEXT) | instid1(VALU_DEP_1)
	v_add_nc_u32_e32 v10, 1, v9
	v_cndmask_b32_e32 v2, v9, v10, vcc_lo
	s_delay_alu instid0(VALU_DEP_1) | instskip(NEXT) | instid1(VALU_DEP_1)
	v_xor_b32_e32 v2, v2, v8
	v_sub_nc_u32_e32 v8, v2, v8
	s_delay_alu instid0(VALU_DEP_1) | instskip(SKIP_1) | instid1(VALU_DEP_1)
	v_cmp_gt_i32_e32 vcc_lo, s25, v8
	v_dual_cndmask_b32 v14, 0, v11 :: v_dual_ashrrev_i32 v9, 31, v8
	v_mul_u64_e32 v[16:17], s[58:59], v[8:9]
	s_delay_alu instid0(VALU_DEP_1)
	v_lshl_add_u64 v[8:9], v[16:17], 1, s[38:39]
	s_branch .LBB27_18
.LBB27_17:                              ;   in Loop: Header=BB27_18 Depth=4
	s_wait_xcnt 0x0
	s_or_b32 exec_lo, exec_lo, s68
	v_subrev_nc_u32_e32 v15, s46, v15
	s_add_co_i32 s67, s67, -1
	s_add_nc_u64 s[54:55], s[54:55], s[14:15]
	s_cmp_eq_u32 s67, 0
	s_cbranch_scc1 .LBB27_8
.LBB27_18:                              ;   Parent Loop BB27_3 Depth=1
                                        ;     Parent Loop BB27_6 Depth=2
                                        ;       Parent Loop BB27_9 Depth=3
                                        ; =>      This Inner Loop Header: Depth=4
	v_sub_nc_u32_e32 v17, 0, v15
	s_mov_b32 s68, 0
	s_mov_b32 s69, exec_lo
                                        ; implicit-def: $vgpr10
                                        ; implicit-def: $vgpr11
                                        ; implicit-def: $vgpr2
                                        ; implicit-def: $vgpr16
	v_cmpx_lt_i32_e32 -1, v15
	s_xor_b32 s69, exec_lo, s69
	s_cbranch_execnz .LBB27_24
; %bb.19:                               ;   in Loop: Header=BB27_18 Depth=4
	s_and_not1_saveexec_b32 s69, s69
	s_cbranch_execnz .LBB27_25
.LBB27_20:                              ;   in Loop: Header=BB27_18 Depth=4
	s_or_b32 exec_lo, exec_lo, s69
	v_mov_b32_e32 v17, 1
	s_and_saveexec_b32 s69, s68
.LBB27_21:                              ;   in Loop: Header=BB27_18 Depth=4
	v_mov_b32_e32 v17, 0
.LBB27_22:                              ;   in Loop: Header=BB27_18 Depth=4
	s_or_b32 exec_lo, exec_lo, s69
	v_cmp_le_u32_e32 vcc_lo, s63, v2
	v_add_nc_u32_e32 v18, 1, v11
	s_mov_b32 s68, exec_lo
	v_dual_cndmask_b32 v2, v2, v16, vcc_lo :: v_dual_bitop2_b32 v10, s44, v10 bitop3:0x14
	s_delay_alu instid0(VALU_DEP_2) | instskip(NEXT) | instid1(VALU_DEP_2)
	v_cndmask_b32_e32 v11, v11, v18, vcc_lo
	v_cmp_le_u32_e32 vcc_lo, s63, v2
	s_delay_alu instid0(VALU_DEP_2) | instskip(NEXT) | instid1(VALU_DEP_1)
	v_add_nc_u32_e32 v16, 1, v11
	v_cndmask_b32_e32 v2, v11, v16, vcc_lo
	s_delay_alu instid0(VALU_DEP_1) | instskip(NEXT) | instid1(VALU_DEP_1)
	v_xor_b32_e32 v2, v2, v10
	v_sub_nc_u32_e32 v10, v2, v10
	s_delay_alu instid0(VALU_DEP_1) | instskip(SKIP_1) | instid1(VALU_DEP_1)
	v_cmp_gt_i32_e32 vcc_lo, s26, v10
	v_cndmask_b32_e32 v2, 0, v17, vcc_lo
	v_and_b32_e32 v2, v2, v14
	s_delay_alu instid0(VALU_DEP_1) | instskip(NEXT) | instid1(VALU_DEP_1)
	v_and_b32_e32 v2, 1, v2
	v_cmpx_eq_u32_e32 1, v2
	s_cbranch_execz .LBB27_17
; %bb.23:                               ;   in Loop: Header=BB27_18 Depth=4
	v_ashrrev_i32_e32 v11, 31, v10
	s_delay_alu instid0(VALU_DEP_1) | instskip(NEXT) | instid1(VALU_DEP_1)
	v_mul_u64_e32 v[10:11], s[56:57], v[10:11]
	v_lshl_add_u64 v[10:11], v[10:11], 1, v[8:9]
	global_load_u16 v2, v[10:11], off
	global_load_u16 v10, v3, s[54:55]
	s_wait_loadcnt 0x1
	v_cvt_f32_f16_e32 v2, v2
	s_wait_loadcnt 0x0
	v_cvt_f32_f16_e32 v16, v10
	s_delay_alu instid0(VALU_DEP_2) | instskip(NEXT) | instid1(VALU_DEP_2)
	v_cvt_f64_f32_e32 v[10:11], v2
	v_cvt_f64_f32_e32 v[16:17], v16
	s_delay_alu instid0(VALU_DEP_1)
	v_fmac_f64_e32 v[4:5], v[10:11], v[16:17]
	s_branch .LBB27_17
.LBB27_24:                              ;   in Loop: Header=BB27_18 Depth=4
	v_max_i32_e32 v2, v15, v17
	s_delay_alu instid0(VALU_DEP_1) | instskip(NEXT) | instid1(VALU_DEP_1)
	v_mul_u64_e32 v[10:11], s[18:19], v[2:3]
	v_mul_lo_u32 v10, v11, s63
	s_delay_alu instid0(VALU_DEP_1) | instskip(NEXT) | instid1(VALU_DEP_1)
	v_dual_sub_nc_u32 v2, v2, v10 :: v_dual_ashrrev_i32 v10, 31, v15
	v_subrev_nc_u32_e32 v16, s63, v2
	v_cmp_le_u32_e32 vcc_lo, s63, v2
	s_delay_alu instid0(VALU_DEP_2) | instskip(NEXT) | instid1(VALU_DEP_1)
	v_cndmask_b32_e32 v17, v2, v16, vcc_lo
	v_subrev_nc_u32_e32 v18, s63, v17
	v_cmp_le_u32_e32 vcc_lo, s63, v17
	s_delay_alu instid0(VALU_DEP_2) | instskip(NEXT) | instid1(VALU_DEP_1)
	v_cndmask_b32_e32 v17, v17, v18, vcc_lo
	v_xor_b32_e32 v17, v17, v10
	s_delay_alu instid0(VALU_DEP_1) | instskip(NEXT) | instid1(VALU_DEP_1)
	v_sub_nc_u32_e32 v17, v17, v10
	v_cmp_ne_u32_e32 vcc_lo, 0, v17
                                        ; implicit-def: $vgpr17
	s_and_b32 s68, vcc_lo, exec_lo
	s_and_not1_saveexec_b32 s69, s69
	s_cbranch_execz .LBB27_20
.LBB27_25:                              ;   in Loop: Header=BB27_18 Depth=4
	v_max_i32_e32 v2, v15, v17
	s_or_b32 s68, s68, exec_lo
	s_delay_alu instid0(VALU_DEP_1) | instskip(NEXT) | instid1(VALU_DEP_1)
	v_mul_u64_e32 v[10:11], s[18:19], v[2:3]
	v_mul_lo_u32 v10, v11, s63
	s_delay_alu instid0(VALU_DEP_1) | instskip(NEXT) | instid1(VALU_DEP_1)
	v_dual_sub_nc_u32 v2, v2, v10 :: v_dual_ashrrev_i32 v10, 31, v15
	v_subrev_nc_u32_e32 v16, s63, v2
	s_or_b32 exec_lo, exec_lo, s69
	v_mov_b32_e32 v17, 1
	s_and_saveexec_b32 s69, s68
	s_cbranch_execnz .LBB27_21
	s_branch .LBB27_22
.LBB27_26:                              ;   in Loop: Header=BB27_3 Depth=1
	v_ashrrev_i32_e32 v7, 31, v6
	s_and_b32 vcc_lo, exec_lo, s64
	s_mov_b32 s2, -1
	s_delay_alu instid0(VALU_DEP_1) | instskip(NEXT) | instid1(VALU_DEP_1)
	v_mul_u64_e32 v[6:7], s[6:7], v[6:7]
	v_mad_nc_u64_u32 v[6:7], s4, v12, v[6:7]
	s_delay_alu instid0(VALU_DEP_1) | instskip(SKIP_1) | instid1(VALU_DEP_1)
	v_mad_u32 v2, s5, v12, v7
	v_ashrrev_i32_e32 v7, 31, v12
	v_mad_u32 v7, s4, v7, v2
	s_cbranch_vccz .LBB27_28
; %bb.27:                               ;   in Loop: Header=BB27_3 Depth=1
	s_delay_alu instid0(VALU_DEP_1) | instskip(SKIP_4) | instid1(VALU_DEP_1)
	v_lshl_add_u64 v[8:9], v[6:7], 1, s[0:1]
	s_mov_b32 s2, 0
	global_load_u16 v2, v[8:9], off
	s_wait_loadcnt 0x0
	v_cvt_f32_f16_e32 v2, v2
	v_cvt_f64_f32_e32 v[10:11], v2
	s_delay_alu instid0(VALU_DEP_1) | instskip(NEXT) | instid1(VALU_DEP_1)
	v_mul_f64_e32 v[10:11], s[42:43], v[10:11]
	v_fmac_f64_e32 v[10:11], s[40:41], v[4:5]
	s_delay_alu instid0(VALU_DEP_1) | instskip(SKIP_2) | instid1(VALU_DEP_3)
	v_and_or_b32 v2, 0x1ff, v11, v10
	v_lshrrev_b32_e32 v10, 8, v11
	v_bfe_u32 v12, v11, 20, 11
	v_cmp_ne_u32_e32 vcc_lo, 0, v2
	s_delay_alu instid0(VALU_DEP_2) | instskip(SKIP_2) | instid1(VALU_DEP_1)
	v_sub_nc_u32_e32 v13, 0x3f1, v12
	v_add_nc_u32_e32 v12, 0xfffffc10, v12
	v_cndmask_b32_e64 v2, 0, 1, vcc_lo
	v_and_or_b32 v2, 0xffe, v10, v2
	s_delay_alu instid0(VALU_DEP_4) | instskip(NEXT) | instid1(VALU_DEP_2)
	v_med3_i32 v10, v13, 0, 13
	v_or_b32_e32 v13, 0x1000, v2
	s_delay_alu instid0(VALU_DEP_1) | instskip(NEXT) | instid1(VALU_DEP_1)
	v_lshrrev_b32_e32 v14, v10, v13
	v_lshlrev_b32_e32 v10, v10, v14
	s_delay_alu instid0(VALU_DEP_1) | instskip(SKIP_3) | instid1(VALU_DEP_2)
	v_cmp_ne_u32_e32 vcc_lo, v10, v13
	v_lshl_or_b32 v13, v12, 12, v2
	v_cndmask_b32_e64 v10, 0, 1, vcc_lo
	v_cmp_gt_i32_e32 vcc_lo, 1, v12
	v_or_b32_e32 v10, v14, v10
	s_delay_alu instid0(VALU_DEP_1) | instskip(NEXT) | instid1(VALU_DEP_1)
	v_cndmask_b32_e32 v10, v13, v10, vcc_lo
	v_dual_lshrrev_b32 v10, 2, v10 :: v_dual_bitop2_b32 v13, 7, v10 bitop3:0x40
	s_delay_alu instid0(VALU_DEP_1) | instskip(SKIP_4) | instid1(VALU_DEP_2)
	v_cmp_lt_i32_e32 vcc_lo, 5, v13
	v_cndmask_b32_e64 v14, 0, 1, vcc_lo
	v_cmp_eq_u32_e32 vcc_lo, 3, v13
	v_cndmask_b32_e64 v13, 0, 1, vcc_lo
	v_cmp_ne_u32_e32 vcc_lo, 0, v2
	v_or_b32_e32 v13, v13, v14
	v_cndmask_b32_e32 v2, 0x7c00, v1, vcc_lo
	v_cmp_gt_i32_e32 vcc_lo, 31, v12
	s_delay_alu instid0(VALU_DEP_3) | instskip(NEXT) | instid1(VALU_DEP_1)
	v_add_nc_u32_e32 v10, v10, v13
	v_cndmask_b32_e32 v10, 0x7c00, v10, vcc_lo
	v_cmp_eq_u32_e32 vcc_lo, 0x40f, v12
	s_delay_alu instid0(VALU_DEP_2) | instskip(NEXT) | instid1(VALU_DEP_1)
	v_dual_cndmask_b32 v2, v10, v2, vcc_lo :: v_dual_lshrrev_b32 v10, 16, v11
	v_and_or_b32 v2, 0x8000, v10, v2
	global_store_b16 v[8:9], v2, off
.LBB27_28:                              ;   in Loop: Header=BB27_3 Depth=1
	s_and_not1_b32 vcc_lo, exec_lo, s2
	s_cbranch_vccnz .LBB27_2
; %bb.29:                               ;   in Loop: Header=BB27_3 Depth=1
	s_wait_xcnt 0x0
	v_and_or_b32 v2, 0x1ff, v5, v4
	v_lshrrev_b32_e32 v4, 8, v5
	v_bfe_u32 v8, v5, 20, 11
	v_lshrrev_b32_e32 v5, 16, v5
	s_delay_alu instid0(VALU_DEP_4) | instskip(NEXT) | instid1(VALU_DEP_3)
	v_cmp_ne_u32_e32 vcc_lo, 0, v2
	v_sub_nc_u32_e32 v9, 0x3f1, v8
	v_add_nc_u32_e32 v8, 0xfffffc10, v8
	v_cndmask_b32_e64 v2, 0, 1, vcc_lo
	s_delay_alu instid0(VALU_DEP_1) | instskip(NEXT) | instid1(VALU_DEP_4)
	v_and_or_b32 v2, 0xffe, v4, v2
	v_med3_i32 v4, v9, 0, 13
	s_delay_alu instid0(VALU_DEP_2) | instskip(NEXT) | instid1(VALU_DEP_1)
	v_or_b32_e32 v9, 0x1000, v2
	v_lshrrev_b32_e32 v10, v4, v9
	s_delay_alu instid0(VALU_DEP_1) | instskip(NEXT) | instid1(VALU_DEP_1)
	v_lshlrev_b32_e32 v4, v4, v10
	v_cmp_ne_u32_e32 vcc_lo, v4, v9
	v_lshl_or_b32 v9, v8, 12, v2
	v_cndmask_b32_e64 v4, 0, 1, vcc_lo
	v_cmp_gt_i32_e32 vcc_lo, 1, v8
	s_delay_alu instid0(VALU_DEP_2) | instskip(NEXT) | instid1(VALU_DEP_1)
	v_or_b32_e32 v4, v10, v4
	v_cndmask_b32_e32 v4, v9, v4, vcc_lo
	s_delay_alu instid0(VALU_DEP_1) | instskip(NEXT) | instid1(VALU_DEP_1)
	v_dual_lshrrev_b32 v4, 2, v4 :: v_dual_bitop2_b32 v9, 7, v4 bitop3:0x40
	v_cmp_lt_i32_e32 vcc_lo, 5, v9
	v_cndmask_b32_e64 v10, 0, 1, vcc_lo
	v_cmp_eq_u32_e32 vcc_lo, 3, v9
	v_cndmask_b32_e64 v9, 0, 1, vcc_lo
	v_cmp_ne_u32_e32 vcc_lo, 0, v2
	s_delay_alu instid0(VALU_DEP_2) | instskip(SKIP_2) | instid1(VALU_DEP_3)
	v_or_b32_e32 v9, v9, v10
	v_cndmask_b32_e32 v2, 0x7c00, v1, vcc_lo
	v_cmp_gt_i32_e32 vcc_lo, 31, v8
	v_add_nc_u32_e32 v4, v4, v9
	s_delay_alu instid0(VALU_DEP_1) | instskip(SKIP_1) | instid1(VALU_DEP_2)
	v_cndmask_b32_e32 v4, 0x7c00, v4, vcc_lo
	v_cmp_eq_u32_e32 vcc_lo, 0x40f, v8
	v_cndmask_b32_e32 v2, v4, v2, vcc_lo
	s_delay_alu instid0(VALU_DEP_1)
	v_and_or_b32 v2, 0x8000, v5, v2
	v_lshl_add_u64 v[4:5], v[6:7], 1, s[0:1]
	global_store_b16 v[4:5], v2, off
	s_branch .LBB27_2
.LBB27_30:
	s_endpgm
	.section	.rodata,"a",@progbits
	.p2align	6, 0x0
	.amdhsa_kernel naive_conv_ab_nonpacked_bwd_nchw_half_double_half
		.amdhsa_group_segment_fixed_size 0
		.amdhsa_private_segment_fixed_size 0
		.amdhsa_kernarg_size 480
		.amdhsa_user_sgpr_count 2
		.amdhsa_user_sgpr_dispatch_ptr 0
		.amdhsa_user_sgpr_queue_ptr 0
		.amdhsa_user_sgpr_kernarg_segment_ptr 1
		.amdhsa_user_sgpr_dispatch_id 0
		.amdhsa_user_sgpr_kernarg_preload_length 0
		.amdhsa_user_sgpr_kernarg_preload_offset 0
		.amdhsa_user_sgpr_private_segment_size 0
		.amdhsa_wavefront_size32 1
		.amdhsa_uses_dynamic_stack 0
		.amdhsa_enable_private_segment 0
		.amdhsa_system_sgpr_workgroup_id_x 1
		.amdhsa_system_sgpr_workgroup_id_y 0
		.amdhsa_system_sgpr_workgroup_id_z 0
		.amdhsa_system_sgpr_workgroup_info 0
		.amdhsa_system_vgpr_workitem_id 0
		.amdhsa_next_free_vgpr 19
		.amdhsa_next_free_sgpr 70
		.amdhsa_named_barrier_count 0
		.amdhsa_reserve_vcc 1
		.amdhsa_float_round_mode_32 0
		.amdhsa_float_round_mode_16_64 0
		.amdhsa_float_denorm_mode_32 3
		.amdhsa_float_denorm_mode_16_64 3
		.amdhsa_fp16_overflow 0
		.amdhsa_memory_ordered 1
		.amdhsa_forward_progress 1
		.amdhsa_inst_pref_size 21
		.amdhsa_round_robin_scheduling 0
		.amdhsa_exception_fp_ieee_invalid_op 0
		.amdhsa_exception_fp_denorm_src 0
		.amdhsa_exception_fp_ieee_div_zero 0
		.amdhsa_exception_fp_ieee_overflow 0
		.amdhsa_exception_fp_ieee_underflow 0
		.amdhsa_exception_fp_ieee_inexact 0
		.amdhsa_exception_int_div_zero 0
	.end_amdhsa_kernel
	.text
.Lfunc_end27:
	.size	naive_conv_ab_nonpacked_bwd_nchw_half_double_half, .Lfunc_end27-naive_conv_ab_nonpacked_bwd_nchw_half_double_half
                                        ; -- End function
	.set naive_conv_ab_nonpacked_bwd_nchw_half_double_half.num_vgpr, 19
	.set naive_conv_ab_nonpacked_bwd_nchw_half_double_half.num_agpr, 0
	.set naive_conv_ab_nonpacked_bwd_nchw_half_double_half.numbered_sgpr, 70
	.set naive_conv_ab_nonpacked_bwd_nchw_half_double_half.num_named_barrier, 0
	.set naive_conv_ab_nonpacked_bwd_nchw_half_double_half.private_seg_size, 0
	.set naive_conv_ab_nonpacked_bwd_nchw_half_double_half.uses_vcc, 1
	.set naive_conv_ab_nonpacked_bwd_nchw_half_double_half.uses_flat_scratch, 0
	.set naive_conv_ab_nonpacked_bwd_nchw_half_double_half.has_dyn_sized_stack, 0
	.set naive_conv_ab_nonpacked_bwd_nchw_half_double_half.has_recursion, 0
	.set naive_conv_ab_nonpacked_bwd_nchw_half_double_half.has_indirect_call, 0
	.section	.AMDGPU.csdata,"",@progbits
; Kernel info:
; codeLenInByte = 2568
; TotalNumSgprs: 72
; NumVgprs: 19
; ScratchSize: 0
; MemoryBound: 0
; FloatMode: 240
; IeeeMode: 1
; LDSByteSize: 0 bytes/workgroup (compile time only)
; SGPRBlocks: 0
; VGPRBlocks: 1
; NumSGPRsForWavesPerEU: 72
; NumVGPRsForWavesPerEU: 19
; NamedBarCnt: 0
; Occupancy: 16
; WaveLimiterHint : 0
; COMPUTE_PGM_RSRC2:SCRATCH_EN: 0
; COMPUTE_PGM_RSRC2:USER_SGPR: 2
; COMPUTE_PGM_RSRC2:TRAP_HANDLER: 0
; COMPUTE_PGM_RSRC2:TGID_X_EN: 1
; COMPUTE_PGM_RSRC2:TGID_Y_EN: 0
; COMPUTE_PGM_RSRC2:TGID_Z_EN: 0
; COMPUTE_PGM_RSRC2:TIDIG_COMP_CNT: 0
	.text
	.protected	naive_conv_ab_packed_bwd_nchw_ushort_double_ushort ; -- Begin function naive_conv_ab_packed_bwd_nchw_ushort_double_ushort
	.globl	naive_conv_ab_packed_bwd_nchw_ushort_double_ushort
	.p2align	8
	.type	naive_conv_ab_packed_bwd_nchw_ushort_double_ushort,@function
naive_conv_ab_packed_bwd_nchw_ushort_double_ushort: ; @naive_conv_ab_packed_bwd_nchw_ushort_double_ushort
; %bb.0:
	s_load_b512 s[4:19], s[0:1], 0xa0
	s_bfe_u32 s2, ttmp6, 0x4000c
	s_and_b32 s3, ttmp6, 15
	s_add_co_i32 s2, s2, 1
	s_getreg_b32 s20, hwreg(HW_REG_IB_STS2, 6, 4)
	s_mul_i32 s2, ttmp9, s2
	s_mov_b32 s27, exec_lo
	s_add_co_i32 s3, s3, s2
	s_cmp_eq_u32 s20, 0
	s_cselect_b32 s20, ttmp9, s3
	s_wait_kmcnt 0x0
	s_abs_i32 s3, s8
	s_delay_alu instid0(SALU_CYCLE_1) | instskip(NEXT) | instid1(SALU_CYCLE_3)
	s_cvt_f32_u32 s2, s3
	v_rcp_iflag_f32_e32 v1, s2
	v_nop
	s_delay_alu instid0(TRANS32_DEP_1) | instskip(SKIP_1) | instid1(SALU_CYCLE_3)
	v_readfirstlane_b32 s2, v1
	s_mul_f32 s2, s2, 0x4f7ffffe
	s_cvt_u32_f32 s21, s2
	s_sub_co_i32 s2, 0, s3
	s_delay_alu instid0(SALU_CYCLE_2) | instskip(NEXT) | instid1(SALU_CYCLE_1)
	s_mul_i32 s2, s2, s21
	s_mul_hi_u32 s22, s21, s2
	s_abs_i32 s2, s20
	s_add_co_i32 s21, s21, s22
	s_delay_alu instid0(SALU_CYCLE_1) | instskip(NEXT) | instid1(SALU_CYCLE_1)
	s_mul_hi_u32 s21, s2, s21
	s_mul_i32 s22, s21, s3
	s_add_co_i32 s23, s21, 1
	s_sub_co_i32 s22, s2, s22
	s_delay_alu instid0(SALU_CYCLE_1)
	s_sub_co_i32 s24, s22, s3
	s_cmp_ge_u32 s22, s3
	s_cselect_b32 s21, s23, s21
	s_cselect_b32 s22, s24, s22
	s_add_co_i32 s24, s21, 1
	s_cmp_ge_u32 s22, s3
	s_mul_i32 s23, s8, s6
	s_cselect_b32 s25, s24, s21
	s_abs_i32 s22, s6
	s_abs_i32 s21, s23
	s_cvt_f32_u32 s3, s22
	s_cvt_f32_u32 s6, s21
	s_delay_alu instid0(SALU_CYCLE_2) | instskip(NEXT) | instid1(SALU_CYCLE_2)
	v_rcp_iflag_f32_e32 v1, s3
	v_rcp_iflag_f32_e32 v2, s6
	s_mul_i32 s6, s5, s4
	s_mov_b32 s3, 0
	s_delay_alu instid0(TRANS32_DEP_2) | instskip(NEXT) | instid1(TRANS32_DEP_1)
	v_readfirstlane_b32 s26, v1
	v_readfirstlane_b32 s24, v2
	v_cmpx_gt_i32_e64 s6, v0
	s_cbranch_execz .LBB28_30
; %bb.1:
	s_ashr_i32 s28, s20, 31
	s_ashr_i32 s41, s8, 31
	s_mul_f32 s26, s26, 0x4f7ffffe
	s_xor_b32 s27, s28, s41
	s_sub_co_i32 s33, 0, s21
	s_xor_b32 s25, s25, s27
	s_cvt_u32_f32 s26, s26
	s_sub_co_i32 s29, s25, s27
	s_sub_co_i32 s25, 0, s22
	s_mul_f32 s27, s24, 0x4f7ffffe
	s_mul_i32 s25, s25, s26
	s_abs_i32 s24, s29
	s_mul_hi_u32 s25, s26, s25
	s_cvt_u32_f32 s31, s27
	s_add_co_i32 s26, s26, s25
	s_mov_b32 s25, s3
	s_mov_b32 s27, s3
	s_mul_i32 s33, s33, s31
	s_mul_u64 s[26:27], s[24:25], s[26:27]
	s_mul_hi_u32 s25, s31, s33
	s_ashr_i32 s33, s23, 31
	s_mul_i32 s23, s27, s22
	s_ashr_i32 s30, s29, 31
	s_mul_i32 s29, s29, s8
	s_sub_co_i32 s23, s24, s23
	s_add_co_i32 s26, s31, s25
	s_sub_co_i32 s38, s20, s29
	s_sub_co_i32 s20, s23, s22
	s_cmp_ge_u32 s23, s22
	s_mov_b32 s27, s3
	s_cselect_b32 s20, s20, s23
	s_mov_b32 s40, s8
	s_sub_co_i32 s23, s20, s22
	s_cmp_ge_u32 s20, s22
	s_mov_b32 s42, s4
	s_cselect_b32 s20, s23, s20
	s_mul_u64 s[22:23], s[2:3], s[26:27]
	s_xor_b32 s20, s20, s30
	s_xor_b32 s33, s28, s33
	s_sub_co_i32 s30, s20, s30
	s_mul_i32 s20, s23, s21
	v_mov_b32_e32 v3, 0
	s_sub_co_i32 s2, s2, s20
	s_add_co_i32 s20, s23, 1
	s_sub_co_i32 s22, s2, s21
	s_cmp_ge_u32 s2, s21
	s_load_b32 s48, s[0:1], 0xec
	s_cselect_b32 s28, s20, s23
	s_cselect_b32 s2, s22, s2
	s_add_co_i32 s29, s28, 1
	s_cmp_ge_u32 s2, s21
	s_load_b256 s[20:27], s[0:1], 0x0
	s_cselect_b32 s2, s29, s28
	s_mul_i32 s28, s19, s8
	s_xor_b32 s2, s2, s33
	s_ashr_i32 s31, s30, 31
	s_ashr_i32 s29, s28, 31
	s_sub_co_i32 s34, s2, s33
	s_mul_u64 s[36:37], s[30:31], s[28:29]
	s_ashr_i32 s35, s34, 31
	s_ashr_i32 s39, s38, 31
	;; [unrolled: 1-line block ×4, first 2 shown]
	s_mul_u64 s[44:45], s[34:35], s[40:41]
	s_add_nc_u64 s[36:37], s[36:37], s[38:39]
	s_mov_b32 s28, s5
	s_add_nc_u64 s[36:37], s[36:37], s[44:45]
	s_mul_u64 s[42:43], s[28:29], s[42:43]
	s_ashr_i32 s45, s7, 31
	s_mul_u64 s[36:37], s[42:43], s[36:37]
	s_mul_i32 s42, s19, s7
	s_mov_b32 s44, s7
	s_ashr_i32 s43, s42, 31
	s_mul_u64 s[44:45], s[34:35], s[44:45]
	s_mul_u64 s[34:35], s[30:31], s[42:43]
	s_ashr_i32 s31, s9, 31
	s_mov_b32 s30, s9
	s_ashr_i32 s9, s10, 31
	s_mov_b32 s8, s10
	s_add_nc_u64 s[42:43], s[44:45], s[34:35]
	s_mul_u64 s[46:47], s[8:9], s[30:31]
	s_wait_kmcnt 0x0
	v_cmp_neq_f64_e64 s2, s[24:25], 1.0
	s_mul_u64 s[42:43], s[46:47], s[42:43]
	v_cmp_neq_f64_e64 s10, s[26:27], 0
	s_lshl_b64 s[36:37], s[36:37], 1
	s_ashr_i32 s35, s17, 31
	s_ashr_i32 s19, s18, 31
	s_lshl_b64 s[42:43], s[42:43], 1
	s_cmp_gt_i32 s7, 0
	s_load_b64 s[46:47], s[0:1], 0x20
	s_cselect_b32 s33, -1, 0
	s_cmp_gt_i32 s17, 0
	s_mov_b32 s34, s17
	s_cselect_b32 s50, -1, 0
	s_cmp_gt_i32 s18, 0
	s_cselect_b32 s51, -1, 0
	s_abs_i32 s52, s5
	s_abs_i32 s53, s11
	s_cvt_f32_u32 s4, s52
	s_wait_xcnt 0x0
	s_cvt_f32_u32 s0, s53
	s_abs_i32 s17, s12
	s_and_b32 s55, s48, 0xffff
	v_rcp_iflag_f32_e32 v1, s4
	s_add_nc_u64 s[4:5], s[20:21], s[36:37]
	s_cvt_f32_u32 s37, s17
	s_ashr_i32 s56, s11, 31
	s_mov_b32 s11, s3
	s_ashr_i32 s12, s12, 31
	s_wait_kmcnt 0x0
	s_add_nc_u64 s[20:21], s[46:47], s[42:43]
	v_nop
	v_readfirstlane_b32 s36, v1
	v_rcp_iflag_f32_e32 v1, s0
	s_mul_u64 s[0:1], s[44:45], s[40:41]
	s_delay_alu instid0(SALU_CYCLE_1)
	s_add_nc_u64 s[0:1], s[0:1], s[38:39]
	s_mul_f32 s36, s36, 0x4f7ffffe
	s_or_b32 s54, s2, s10
	s_sub_co_i32 s10, 0, s52
	v_nop
	v_readfirstlane_b32 s42, v1
	v_rcp_iflag_f32_e32 v1, s37
	s_cvt_u32_f32 s2, s36
	s_mov_b32 s37, s3
	s_mov_b32 s39, s3
	s_mul_f32 s36, s42, 0x4f7ffffe
	s_mul_i32 s10, s10, s2
	v_nop
	v_readfirstlane_b32 s43, v1
	s_mul_hi_u32 s10, s2, s10
	s_cvt_u32_f32 s42, s36
	s_add_co_i32 s36, s2, s10
	s_sub_co_i32 s2, 0, s53
	s_mul_f32 s43, s43, 0x4f7ffffe
	s_mul_i32 s2, s2, s42
	s_delay_alu instid0(SALU_CYCLE_1) | instskip(NEXT) | instid1(SALU_CYCLE_1)
	s_mul_hi_u32 s2, s42, s2
	s_add_co_i32 s10, s42, s2
	s_cvt_u32_f32 s2, s43
	s_sub_co_i32 s42, 0, s17
	s_delay_alu instid0(SALU_CYCLE_2)
	s_mul_i32 s44, s42, s2
	s_mul_u64 s[42:43], s[18:19], s[34:35]
	s_mul_hi_u32 s35, s2, s44
	s_mul_u64 s[0:1], s[42:43], s[0:1]
	s_add_co_i32 s38, s2, s35
	s_lshl_b64 s[0:1], s[0:1], 1
	s_delay_alu instid0(SALU_CYCLE_1)
	s_add_nc_u64 s[22:23], s[22:23], s[0:1]
	s_mul_u64 s[0:1], s[42:43], s[40:41]
	s_lshl_b64 s[42:43], s[18:19], 1
	s_lshl_b64 s[40:41], s[0:1], 1
	s_mov_b32 s19, 0
	s_branch .LBB28_3
.LBB28_2:                               ;   in Loop: Header=BB28_3 Depth=1
	v_add_nc_u32_e32 v0, s55, v0
	s_delay_alu instid0(VALU_DEP_1)
	v_cmp_le_i32_e32 vcc_lo, s6, v0
	s_or_b32 s19, vcc_lo, s19
	s_wait_xcnt 0x0
	s_and_not1_b32 exec_lo, exec_lo, s19
	s_cbranch_execz .LBB28_30
.LBB28_3:                               ; =>This Loop Header: Depth=1
                                        ;     Child Loop BB28_6 Depth 2
                                        ;       Child Loop BB28_9 Depth 3
                                        ;         Child Loop BB28_18 Depth 4
	v_sub_nc_u32_e32 v1, 0, v0
	s_delay_alu instid0(VALU_DEP_1) | instskip(NEXT) | instid1(VALU_DEP_1)
	v_max_i32_e32 v2, v0, v1
	v_mul_u64_e32 v[4:5], s[36:37], v[2:3]
	s_delay_alu instid0(VALU_DEP_1) | instskip(NEXT) | instid1(VALU_DEP_1)
	v_mul_lo_u32 v1, v5, s52
	v_sub_nc_u32_e32 v1, v2, v1
	v_add_nc_u32_e32 v2, 1, v5
	s_delay_alu instid0(VALU_DEP_2) | instskip(NEXT) | instid1(VALU_DEP_2)
	v_cmp_le_u32_e32 vcc_lo, s52, v1
	v_cndmask_b32_e32 v2, v5, v2, vcc_lo
	v_subrev_nc_u32_e32 v4, s52, v1
	v_ashrrev_i32_e32 v5, 31, v0
	s_delay_alu instid0(VALU_DEP_2) | instskip(NEXT) | instid1(VALU_DEP_1)
	v_dual_cndmask_b32 v1, v1, v4 :: v_dual_add_nc_u32 v4, 1, v2
	v_cmp_le_u32_e32 vcc_lo, s52, v1
	s_delay_alu instid0(VALU_DEP_2) | instskip(SKIP_1) | instid1(VALU_DEP_1)
	v_dual_cndmask_b32 v1, v2, v4, vcc_lo :: v_dual_bitop2_b32 v5, s29, v5 bitop3:0x14
	s_and_not1_b32 vcc_lo, exec_lo, s33
	v_xor_b32_e32 v1, v1, v5
	s_delay_alu instid0(VALU_DEP_1) | instskip(SKIP_1) | instid1(VALU_DEP_2)
	v_sub_nc_u32_e32 v1, v1, v5
	v_mov_b64_e32 v[4:5], 0
	v_mul_lo_u32 v2, v1, s28
	s_delay_alu instid0(VALU_DEP_1)
	v_sub_nc_u32_e32 v6, v0, v2
	s_cbranch_vccnz .LBB28_26
; %bb.4:                                ;   in Loop: Header=BB28_3 Depth=1
	s_delay_alu instid0(VALU_DEP_1)
	v_dual_add_nc_u32 v7, s15, v1 :: v_dual_add_nc_u32 v12, s16, v6
	s_mov_b32 s2, 0
	s_mov_b64 s[0:1], s[22:23]
	s_branch .LBB28_6
.LBB28_5:                               ;   in Loop: Header=BB28_6 Depth=2
	s_add_co_i32 s2, s2, 1
	s_add_nc_u64 s[0:1], s[0:1], s[40:41]
	s_cmp_eq_u32 s2, s7
	s_cbranch_scc1 .LBB28_26
.LBB28_6:                               ;   Parent Loop BB28_3 Depth=1
                                        ; =>  This Loop Header: Depth=2
                                        ;       Child Loop BB28_9 Depth 3
                                        ;         Child Loop BB28_18 Depth 4
	s_and_not1_b32 vcc_lo, exec_lo, s50
	s_cbranch_vccnz .LBB28_5
; %bb.7:                                ;   in Loop: Header=BB28_6 Depth=2
	s_mul_u64 s[44:45], s[2:3], s[30:31]
	s_mov_b32 s35, 0
	s_mov_b64 s[46:47], s[0:1]
	s_branch .LBB28_9
.LBB28_8:                               ;   in Loop: Header=BB28_9 Depth=3
	s_add_co_i32 s35, s35, 1
	s_add_nc_u64 s[46:47], s[46:47], s[42:43]
	s_cmp_eq_u32 s35, s34
	s_cbranch_scc1 .LBB28_5
.LBB28_9:                               ;   Parent Loop BB28_3 Depth=1
                                        ;     Parent Loop BB28_6 Depth=2
                                        ; =>    This Loop Header: Depth=3
                                        ;         Child Loop BB28_18 Depth 4
	s_mul_i32 s48, s13, s35
	s_mov_b32 s49, exec_lo
	v_subrev_nc_u32_e32 v11, s48, v7
	s_mov_b32 s48, 0
                                        ; implicit-def: $vgpr8
                                        ; implicit-def: $vgpr9
                                        ; implicit-def: $vgpr2
                                        ; implicit-def: $vgpr10
	s_delay_alu instid0(VALU_DEP_1)
	v_cmpx_lt_i32_e32 -1, v11
	s_xor_b32 s49, exec_lo, s49
	s_cbranch_execnz .LBB28_13
; %bb.10:                               ;   in Loop: Header=BB28_9 Depth=3
	s_and_not1_saveexec_b32 s49, s49
	s_cbranch_execnz .LBB28_14
.LBB28_11:                              ;   in Loop: Header=BB28_9 Depth=3
	s_or_b32 exec_lo, exec_lo, s49
	v_mov_b32_e32 v11, 1
	s_and_saveexec_b32 s49, s48
	s_cbranch_execnz .LBB28_15
.LBB28_12:                              ;   in Loop: Header=BB28_9 Depth=3
	s_or_b32 exec_lo, exec_lo, s49
	s_delay_alu instid0(SALU_CYCLE_1)
	s_and_not1_b32 vcc_lo, exec_lo, s51
	s_cbranch_vccz .LBB28_16
	s_branch .LBB28_8
.LBB28_13:                              ;   in Loop: Header=BB28_9 Depth=3
	v_sub_nc_u32_e32 v2, 0, v11
	s_delay_alu instid0(VALU_DEP_1) | instskip(NEXT) | instid1(VALU_DEP_1)
	v_max_i32_e32 v2, v11, v2
	v_mul_u64_e32 v[8:9], s[10:11], v[2:3]
	s_delay_alu instid0(VALU_DEP_1) | instskip(NEXT) | instid1(VALU_DEP_1)
	v_mul_lo_u32 v8, v9, s53
	v_dual_sub_nc_u32 v2, v2, v8 :: v_dual_ashrrev_i32 v8, 31, v11
	s_delay_alu instid0(VALU_DEP_1) | instskip(SKIP_1) | instid1(VALU_DEP_2)
	v_subrev_nc_u32_e32 v10, s53, v2
	v_cmp_le_u32_e32 vcc_lo, s53, v2
	v_cndmask_b32_e32 v13, v2, v10, vcc_lo
	s_delay_alu instid0(VALU_DEP_1) | instskip(SKIP_1) | instid1(VALU_DEP_2)
	v_subrev_nc_u32_e32 v14, s53, v13
	v_cmp_le_u32_e32 vcc_lo, s53, v13
	v_cndmask_b32_e32 v11, v13, v14, vcc_lo
	s_delay_alu instid0(VALU_DEP_1) | instskip(NEXT) | instid1(VALU_DEP_1)
	v_xor_b32_e32 v11, v11, v8
	v_sub_nc_u32_e32 v11, v11, v8
	s_delay_alu instid0(VALU_DEP_1)
	v_cmp_ne_u32_e32 vcc_lo, 0, v11
                                        ; implicit-def: $vgpr11
	s_and_b32 s48, vcc_lo, exec_lo
	s_and_not1_saveexec_b32 s49, s49
	s_cbranch_execz .LBB28_11
.LBB28_14:                              ;   in Loop: Header=BB28_9 Depth=3
	v_sub_nc_u32_e32 v2, 0, v11
	s_or_b32 s48, s48, exec_lo
	s_delay_alu instid0(VALU_DEP_1) | instskip(NEXT) | instid1(VALU_DEP_1)
	v_max_i32_e32 v2, v11, v2
	v_mul_u64_e32 v[8:9], s[10:11], v[2:3]
	s_delay_alu instid0(VALU_DEP_1) | instskip(NEXT) | instid1(VALU_DEP_1)
	v_mul_lo_u32 v8, v9, s53
	v_dual_sub_nc_u32 v2, v2, v8 :: v_dual_ashrrev_i32 v8, 31, v11
	s_delay_alu instid0(VALU_DEP_1)
	v_subrev_nc_u32_e32 v10, s53, v2
	s_or_b32 exec_lo, exec_lo, s49
	v_mov_b32_e32 v11, 1
	s_and_saveexec_b32 s49, s48
	s_cbranch_execz .LBB28_12
.LBB28_15:                              ;   in Loop: Header=BB28_9 Depth=3
	v_mov_b32_e32 v11, 0
	s_or_b32 exec_lo, exec_lo, s49
	s_delay_alu instid0(SALU_CYCLE_1)
	s_and_not1_b32 vcc_lo, exec_lo, s51
	s_cbranch_vccnz .LBB28_8
.LBB28_16:                              ;   in Loop: Header=BB28_9 Depth=3
	v_cmp_le_u32_e32 vcc_lo, s53, v2
	v_add_nc_u32_e32 v13, 1, v9
	s_mov_b64 s[48:49], s[46:47]
	s_mov_b32 s57, s18
	v_dual_cndmask_b32 v2, v2, v10, vcc_lo :: v_dual_bitop2_b32 v8, s56, v8 bitop3:0x14
	s_delay_alu instid0(VALU_DEP_2) | instskip(NEXT) | instid1(VALU_DEP_2)
	v_cndmask_b32_e32 v9, v9, v13, vcc_lo
	v_cmp_le_u32_e32 vcc_lo, s53, v2
	s_delay_alu instid0(VALU_DEP_2) | instskip(NEXT) | instid1(VALU_DEP_1)
	v_add_nc_u32_e32 v10, 1, v9
	v_cndmask_b32_e32 v2, v9, v10, vcc_lo
	s_delay_alu instid0(VALU_DEP_1) | instskip(NEXT) | instid1(VALU_DEP_1)
	v_xor_b32_e32 v2, v2, v8
	v_sub_nc_u32_e32 v8, v2, v8
	s_delay_alu instid0(VALU_DEP_1) | instskip(SKIP_1) | instid1(VALU_DEP_1)
	v_cmp_gt_i32_e32 vcc_lo, s30, v8
	v_dual_cndmask_b32 v13, 0, v11, vcc_lo :: v_dual_ashrrev_i32 v9, 31, v8
	v_add_nc_u64_e32 v[14:15], s[44:45], v[8:9]
	s_delay_alu instid0(VALU_DEP_1) | instskip(NEXT) | instid1(VALU_DEP_1)
	v_mul_u64_e32 v[14:15], s[8:9], v[14:15]
	v_lshl_add_u64 v[8:9], v[14:15], 1, s[20:21]
	v_mov_b32_e32 v14, v12
	s_branch .LBB28_18
.LBB28_17:                              ;   in Loop: Header=BB28_18 Depth=4
	s_or_b32 exec_lo, exec_lo, s58
	v_subrev_nc_u32_e32 v14, s14, v14
	s_add_co_i32 s57, s57, -1
	s_add_nc_u64 s[48:49], s[48:49], 2
	s_cmp_eq_u32 s57, 0
	s_cbranch_scc1 .LBB28_8
.LBB28_18:                              ;   Parent Loop BB28_3 Depth=1
                                        ;     Parent Loop BB28_6 Depth=2
                                        ;       Parent Loop BB28_9 Depth=3
                                        ; =>      This Inner Loop Header: Depth=4
	s_delay_alu instid0(VALU_DEP_1)
	v_sub_nc_u32_e32 v16, 0, v14
	s_mov_b32 s58, 0
	s_mov_b32 s59, exec_lo
                                        ; implicit-def: $vgpr10
                                        ; implicit-def: $vgpr11
                                        ; implicit-def: $vgpr2
                                        ; implicit-def: $vgpr15
	v_cmpx_lt_i32_e32 -1, v14
	s_xor_b32 s59, exec_lo, s59
	s_cbranch_execnz .LBB28_24
; %bb.19:                               ;   in Loop: Header=BB28_18 Depth=4
	s_and_not1_saveexec_b32 s59, s59
	s_cbranch_execnz .LBB28_25
.LBB28_20:                              ;   in Loop: Header=BB28_18 Depth=4
	s_or_b32 exec_lo, exec_lo, s59
	v_mov_b32_e32 v16, 1
	s_and_saveexec_b32 s59, s58
.LBB28_21:                              ;   in Loop: Header=BB28_18 Depth=4
	v_mov_b32_e32 v16, 0
.LBB28_22:                              ;   in Loop: Header=BB28_18 Depth=4
	s_or_b32 exec_lo, exec_lo, s59
	v_add_nc_u32_e32 v17, 1, v11
	v_cmp_le_u32_e32 vcc_lo, s17, v2
	s_mov_b32 s58, exec_lo
	s_delay_alu instid0(VALU_DEP_2) | instskip(NEXT) | instid1(VALU_DEP_1)
	v_dual_cndmask_b32 v11, v11, v17 :: v_dual_cndmask_b32 v2, v2, v15
	v_add_nc_u32_e32 v15, 1, v11
	s_delay_alu instid0(VALU_DEP_2) | instskip(NEXT) | instid1(VALU_DEP_2)
	v_cmp_le_u32_e32 vcc_lo, s17, v2
	v_dual_cndmask_b32 v2, v11, v15, vcc_lo :: v_dual_bitop2_b32 v10, s12, v10 bitop3:0x14
	s_delay_alu instid0(VALU_DEP_1) | instskip(NEXT) | instid1(VALU_DEP_1)
	v_xor_b32_e32 v2, v2, v10
	v_sub_nc_u32_e32 v10, v2, v10
	s_delay_alu instid0(VALU_DEP_1) | instskip(SKIP_1) | instid1(VALU_DEP_1)
	v_cmp_gt_i32_e32 vcc_lo, s8, v10
	v_cndmask_b32_e32 v2, 0, v16, vcc_lo
	v_and_b32_e32 v2, v2, v13
	s_delay_alu instid0(VALU_DEP_1) | instskip(NEXT) | instid1(VALU_DEP_1)
	v_and_b32_e32 v2, 1, v2
	v_cmpx_eq_u32_e32 1, v2
	s_cbranch_execz .LBB28_17
; %bb.23:                               ;   in Loop: Header=BB28_18 Depth=4
	v_ashrrev_i32_e32 v11, 31, v10
	s_load_u16 s59, s[48:49], 0x0
	s_delay_alu instid0(VALU_DEP_1)
	v_lshl_add_u64 v[10:11], v[10:11], 1, v[8:9]
	global_load_u16 v2, v[10:11], off
	s_wait_kmcnt 0x0
	s_lshl_b32 s59, s59, 16
	s_wait_xcnt 0x0
	v_cvt_f64_f32_e32 v[10:11], s59
	s_wait_loadcnt 0x0
	v_lshlrev_b32_e32 v2, 16, v2
	s_delay_alu instid0(VALU_DEP_1) | instskip(NEXT) | instid1(VALU_DEP_1)
	v_cvt_f64_f32_e32 v[16:17], v2
	v_fmac_f64_e32 v[4:5], v[16:17], v[10:11]
	s_branch .LBB28_17
.LBB28_24:                              ;   in Loop: Header=BB28_18 Depth=4
	v_max_i32_e32 v2, v14, v16
	s_delay_alu instid0(VALU_DEP_1) | instskip(NEXT) | instid1(VALU_DEP_1)
	v_mul_u64_e32 v[10:11], s[38:39], v[2:3]
	v_mul_lo_u32 v10, v11, s17
	s_delay_alu instid0(VALU_DEP_1) | instskip(SKIP_1) | instid1(VALU_DEP_2)
	v_sub_nc_u32_e32 v2, v2, v10
	v_ashrrev_i32_e32 v10, 31, v14
	v_subrev_nc_u32_e32 v15, s17, v2
	v_cmp_le_u32_e32 vcc_lo, s17, v2
	s_delay_alu instid0(VALU_DEP_2) | instskip(NEXT) | instid1(VALU_DEP_1)
	v_cndmask_b32_e32 v16, v2, v15, vcc_lo
	v_subrev_nc_u32_e32 v17, s17, v16
	v_cmp_le_u32_e32 vcc_lo, s17, v16
	s_delay_alu instid0(VALU_DEP_2) | instskip(NEXT) | instid1(VALU_DEP_1)
	v_cndmask_b32_e32 v16, v16, v17, vcc_lo
	v_xor_b32_e32 v16, v16, v10
	s_delay_alu instid0(VALU_DEP_1) | instskip(NEXT) | instid1(VALU_DEP_1)
	v_sub_nc_u32_e32 v16, v16, v10
	v_cmp_ne_u32_e32 vcc_lo, 0, v16
                                        ; implicit-def: $vgpr16
	s_and_b32 s58, vcc_lo, exec_lo
	s_and_not1_saveexec_b32 s59, s59
	s_cbranch_execz .LBB28_20
.LBB28_25:                              ;   in Loop: Header=BB28_18 Depth=4
	v_max_i32_e32 v2, v14, v16
	s_or_b32 s58, s58, exec_lo
	s_delay_alu instid0(VALU_DEP_1) | instskip(NEXT) | instid1(VALU_DEP_1)
	v_mul_u64_e32 v[10:11], s[38:39], v[2:3]
	v_mul_lo_u32 v10, v11, s17
	s_delay_alu instid0(VALU_DEP_1) | instskip(SKIP_1) | instid1(VALU_DEP_2)
	v_sub_nc_u32_e32 v2, v2, v10
	v_ashrrev_i32_e32 v10, 31, v14
	v_subrev_nc_u32_e32 v15, s17, v2
	s_or_b32 exec_lo, exec_lo, s59
	v_mov_b32_e32 v16, 1
	s_and_saveexec_b32 s59, s58
	s_cbranch_execnz .LBB28_21
	s_branch .LBB28_22
.LBB28_26:                              ;   in Loop: Header=BB28_3 Depth=1
	s_delay_alu instid0(VALU_DEP_1) | instskip(SKIP_2) | instid1(VALU_DEP_1)
	v_ashrrev_i32_e32 v7, 31, v6
	s_and_b32 vcc_lo, exec_lo, s54
	s_mov_b32 s0, -1
	v_mad_nc_i64_i32 v[6:7], v1, s28, v[6:7]
	s_cbranch_vccz .LBB28_28
; %bb.27:                               ;   in Loop: Header=BB28_3 Depth=1
	s_delay_alu instid0(VALU_DEP_1) | instskip(SKIP_3) | instid1(VALU_DEP_1)
	v_lshl_add_u64 v[8:9], v[6:7], 1, s[4:5]
	global_load_u16 v1, v[8:9], off
	s_wait_loadcnt 0x0
	v_lshlrev_b32_e32 v1, 16, v1
	v_cvt_f64_f32_e32 v[10:11], v1
	s_delay_alu instid0(VALU_DEP_1) | instskip(NEXT) | instid1(VALU_DEP_1)
	v_mul_f64_e32 v[10:11], s[26:27], v[10:11]
	v_fmac_f64_e32 v[10:11], s[24:25], v[4:5]
	s_delay_alu instid0(VALU_DEP_1) | instskip(NEXT) | instid1(VALU_DEP_1)
	v_cvt_f32_f64_e32 v1, v[10:11]
	v_and_b32_e32 v2, 0x7f800000, v1
	v_and_b32_e32 v10, 0xffff, v1
	v_lshrrev_b32_e32 v1, 16, v1
	s_delay_alu instid0(VALU_DEP_3) | instskip(NEXT) | instid1(VALU_DEP_3)
	v_cmp_eq_u32_e32 vcc_lo, 0x7f800000, v2
	v_cmp_ne_u32_e64 s0, 0, v10
	s_and_b32 s0, vcc_lo, s0
	s_delay_alu instid0(SALU_CYCLE_1) | instskip(SKIP_1) | instid1(VALU_DEP_1)
	v_cndmask_b32_e64 v2, 0, 1, s0
	s_mov_b32 s0, 0
	v_or_b32_e32 v1, v1, v2
	global_store_b16 v[8:9], v1, off
.LBB28_28:                              ;   in Loop: Header=BB28_3 Depth=1
	s_and_not1_b32 vcc_lo, exec_lo, s0
	s_cbranch_vccnz .LBB28_2
; %bb.29:                               ;   in Loop: Header=BB28_3 Depth=1
	s_wait_xcnt 0x0
	s_delay_alu instid0(VALU_DEP_4) | instskip(NEXT) | instid1(VALU_DEP_1)
	v_cvt_f32_f64_e32 v1, v[4:5]
	v_and_b32_e32 v2, 0x7f800000, v1
	v_and_b32_e32 v4, 0xffff, v1
	v_lshrrev_b32_e32 v1, 16, v1
	s_delay_alu instid0(VALU_DEP_3) | instskip(NEXT) | instid1(VALU_DEP_3)
	v_cmp_eq_u32_e32 vcc_lo, 0x7f800000, v2
	v_cmp_ne_u32_e64 s0, 0, v4
	v_lshl_add_u64 v[4:5], v[6:7], 1, s[4:5]
	s_and_b32 s0, vcc_lo, s0
	s_delay_alu instid0(SALU_CYCLE_1) | instskip(NEXT) | instid1(VALU_DEP_1)
	v_cndmask_b32_e64 v2, 0, 1, s0
	v_or_b32_e32 v1, v1, v2
	global_store_b16 v[4:5], v1, off
	s_branch .LBB28_2
.LBB28_30:
	s_endpgm
	.section	.rodata,"a",@progbits
	.p2align	6, 0x0
	.amdhsa_kernel naive_conv_ab_packed_bwd_nchw_ushort_double_ushort
		.amdhsa_group_segment_fixed_size 0
		.amdhsa_private_segment_fixed_size 0
		.amdhsa_kernarg_size 480
		.amdhsa_user_sgpr_count 2
		.amdhsa_user_sgpr_dispatch_ptr 0
		.amdhsa_user_sgpr_queue_ptr 0
		.amdhsa_user_sgpr_kernarg_segment_ptr 1
		.amdhsa_user_sgpr_dispatch_id 0
		.amdhsa_user_sgpr_kernarg_preload_length 0
		.amdhsa_user_sgpr_kernarg_preload_offset 0
		.amdhsa_user_sgpr_private_segment_size 0
		.amdhsa_wavefront_size32 1
		.amdhsa_uses_dynamic_stack 0
		.amdhsa_enable_private_segment 0
		.amdhsa_system_sgpr_workgroup_id_x 1
		.amdhsa_system_sgpr_workgroup_id_y 0
		.amdhsa_system_sgpr_workgroup_id_z 0
		.amdhsa_system_sgpr_workgroup_info 0
		.amdhsa_system_vgpr_workitem_id 0
		.amdhsa_next_free_vgpr 18
		.amdhsa_next_free_sgpr 60
		.amdhsa_named_barrier_count 0
		.amdhsa_reserve_vcc 1
		.amdhsa_float_round_mode_32 0
		.amdhsa_float_round_mode_16_64 0
		.amdhsa_float_denorm_mode_32 3
		.amdhsa_float_denorm_mode_16_64 3
		.amdhsa_fp16_overflow 0
		.amdhsa_memory_ordered 1
		.amdhsa_forward_progress 1
		.amdhsa_inst_pref_size 18
		.amdhsa_round_robin_scheduling 0
		.amdhsa_exception_fp_ieee_invalid_op 0
		.amdhsa_exception_fp_denorm_src 0
		.amdhsa_exception_fp_ieee_div_zero 0
		.amdhsa_exception_fp_ieee_overflow 0
		.amdhsa_exception_fp_ieee_underflow 0
		.amdhsa_exception_fp_ieee_inexact 0
		.amdhsa_exception_int_div_zero 0
	.end_amdhsa_kernel
	.text
.Lfunc_end28:
	.size	naive_conv_ab_packed_bwd_nchw_ushort_double_ushort, .Lfunc_end28-naive_conv_ab_packed_bwd_nchw_ushort_double_ushort
                                        ; -- End function
	.set naive_conv_ab_packed_bwd_nchw_ushort_double_ushort.num_vgpr, 18
	.set naive_conv_ab_packed_bwd_nchw_ushort_double_ushort.num_agpr, 0
	.set naive_conv_ab_packed_bwd_nchw_ushort_double_ushort.numbered_sgpr, 60
	.set naive_conv_ab_packed_bwd_nchw_ushort_double_ushort.num_named_barrier, 0
	.set naive_conv_ab_packed_bwd_nchw_ushort_double_ushort.private_seg_size, 0
	.set naive_conv_ab_packed_bwd_nchw_ushort_double_ushort.uses_vcc, 1
	.set naive_conv_ab_packed_bwd_nchw_ushort_double_ushort.uses_flat_scratch, 0
	.set naive_conv_ab_packed_bwd_nchw_ushort_double_ushort.has_dyn_sized_stack, 0
	.set naive_conv_ab_packed_bwd_nchw_ushort_double_ushort.has_recursion, 0
	.set naive_conv_ab_packed_bwd_nchw_ushort_double_ushort.has_indirect_call, 0
	.section	.AMDGPU.csdata,"",@progbits
; Kernel info:
; codeLenInByte = 2188
; TotalNumSgprs: 62
; NumVgprs: 18
; ScratchSize: 0
; MemoryBound: 0
; FloatMode: 240
; IeeeMode: 1
; LDSByteSize: 0 bytes/workgroup (compile time only)
; SGPRBlocks: 0
; VGPRBlocks: 1
; NumSGPRsForWavesPerEU: 62
; NumVGPRsForWavesPerEU: 18
; NamedBarCnt: 0
; Occupancy: 16
; WaveLimiterHint : 0
; COMPUTE_PGM_RSRC2:SCRATCH_EN: 0
; COMPUTE_PGM_RSRC2:USER_SGPR: 2
; COMPUTE_PGM_RSRC2:TRAP_HANDLER: 0
; COMPUTE_PGM_RSRC2:TGID_X_EN: 1
; COMPUTE_PGM_RSRC2:TGID_Y_EN: 0
; COMPUTE_PGM_RSRC2:TGID_Z_EN: 0
; COMPUTE_PGM_RSRC2:TIDIG_COMP_CNT: 0
	.text
	.protected	naive_conv_ab_nonpacked_bwd_nchw_ushort_double_ushort ; -- Begin function naive_conv_ab_nonpacked_bwd_nchw_ushort_double_ushort
	.globl	naive_conv_ab_nonpacked_bwd_nchw_ushort_double_ushort
	.p2align	8
	.type	naive_conv_ab_nonpacked_bwd_nchw_ushort_double_ushort,@function
naive_conv_ab_nonpacked_bwd_nchw_ushort_double_ushort: ; @naive_conv_ab_nonpacked_bwd_nchw_ushort_double_ushort
; %bb.0:
	s_load_b256 s[20:27], s[0:1], 0xa0
	s_bfe_u32 s2, ttmp6, 0x4000c
	s_and_b32 s3, ttmp6, 15
	s_add_co_i32 s2, s2, 1
	s_getreg_b32 s4, hwreg(HW_REG_IB_STS2, 6, 4)
	s_mul_i32 s2, ttmp9, s2
	s_mov_b32 s10, exec_lo
	s_add_co_i32 s3, s3, s2
	s_cmp_eq_u32 s4, 0
	s_cselect_b32 s4, ttmp9, s3
	s_wait_kmcnt 0x0
	s_abs_i32 s3, s24
	s_mul_i32 s20, s21, s20
	s_cvt_f32_u32 s2, s3
	s_delay_alu instid0(SALU_CYCLE_3) | instskip(SKIP_1) | instid1(TRANS32_DEP_1)
	v_rcp_iflag_f32_e32 v1, s2
	v_nop
	v_readfirstlane_b32 s2, v1
	s_mul_f32 s2, s2, 0x4f7ffffe
	s_delay_alu instid0(SALU_CYCLE_3) | instskip(SKIP_1) | instid1(SALU_CYCLE_2)
	s_cvt_u32_f32 s5, s2
	s_sub_co_i32 s2, 0, s3
	s_mul_i32 s2, s2, s5
	s_delay_alu instid0(SALU_CYCLE_1) | instskip(SKIP_2) | instid1(SALU_CYCLE_1)
	s_mul_hi_u32 s6, s5, s2
	s_abs_i32 s2, s4
	s_add_co_i32 s5, s5, s6
	s_mul_hi_u32 s5, s2, s5
	s_delay_alu instid0(SALU_CYCLE_1) | instskip(SKIP_2) | instid1(SALU_CYCLE_1)
	s_mul_i32 s6, s5, s3
	s_add_co_i32 s7, s5, 1
	s_sub_co_i32 s6, s2, s6
	s_sub_co_i32 s8, s6, s3
	s_cmp_ge_u32 s6, s3
	s_cselect_b32 s5, s7, s5
	s_cselect_b32 s6, s8, s6
	s_add_co_i32 s7, s5, 1
	s_cmp_ge_u32 s6, s3
	s_mul_i32 s6, s24, s22
	s_cselect_b32 s8, s7, s5
	s_abs_i32 s5, s22
	s_abs_i32 s22, s6
	s_cvt_f32_u32 s3, s5
	s_cvt_f32_u32 s7, s22
	s_delay_alu instid0(SALU_CYCLE_2) | instskip(NEXT) | instid1(SALU_CYCLE_2)
	v_rcp_iflag_f32_e32 v1, s3
	v_rcp_iflag_f32_e32 v2, s7
	s_mov_b32 s3, 0
	s_delay_alu instid0(TRANS32_DEP_2) | instskip(NEXT) | instid1(TRANS32_DEP_1)
	v_readfirstlane_b32 s9, v1
	v_readfirstlane_b32 s7, v2
	v_cmpx_gt_i32_e64 s20, v0
	s_cbranch_execz .LBB29_30
; %bb.1:
	s_ashr_i32 s28, s4, 31
	s_ashr_i32 s10, s24, 31
	s_mul_f32 s9, s9, 0x4f7ffffe
	s_xor_b32 s10, s28, s10
	s_mul_f32 s7, s7, 0x4f7ffffe
	s_xor_b32 s8, s8, s10
	s_cvt_u32_f32 s9, s9
	s_sub_co_i32 s12, s8, s10
	s_sub_co_i32 s8, 0, s5
	s_cvt_u32_f32 s7, s7
	s_mul_i32 s8, s8, s9
	s_sub_co_i32 s13, 0, s22
	s_mul_hi_u32 s10, s9, s8
	s_abs_i32 s8, s12
	s_add_co_i32 s10, s9, s10
	s_mov_b32 s9, s3
	s_mov_b32 s11, s3
	s_mul_i32 s13, s13, s7
	s_mul_u64 s[10:11], s[8:9], s[10:11]
	s_mul_hi_u32 s9, s7, s13
	s_ashr_i32 s30, s6, 31
	s_add_co_i32 s6, s7, s9
	s_mul_i32 s7, s11, s5
	s_ashr_i32 s29, s12, 31
	s_mul_i32 s12, s12, s24
	s_sub_co_i32 s7, s8, s7
	s_sub_co_i32 s34, s4, s12
	;; [unrolled: 1-line block ×3, first 2 shown]
	s_cmp_ge_u32 s7, s5
	s_load_b256 s[36:43], s[0:1], 0x0
	s_cselect_b32 s4, s4, s7
	s_mov_b32 s7, s3
	s_sub_co_i32 s8, s4, s5
	s_cmp_ge_u32 s4, s5
	s_mul_u64 s[44:45], s[2:3], s[6:7]
	s_cselect_b32 s4, s8, s4
	s_xor_b32 s33, s28, s30
	s_xor_b32 s24, s4, s29
	s_load_b512 s[4:19], s[0:1], 0x28
	s_sub_co_i32 s52, s24, s29
	s_mul_i32 s24, s45, s22
	s_clause 0x1
	s_load_b64 s[54:55], s[0:1], 0x98
	s_load_b128 s[28:31], s[0:1], 0x88
	s_sub_co_i32 s2, s2, s24
	s_add_co_i32 s24, s45, 1
	s_sub_co_i32 s35, s2, s22
	s_cmp_ge_u32 s2, s22
	s_load_b64 s[66:67], s[0:1], 0x20
	s_cselect_b32 s24, s24, s45
	s_load_b256 s[44:51], s[0:1], 0xc0
	s_cselect_b32 s2, s35, s2
	s_add_co_i32 s35, s24, 1
	s_cmp_ge_u32 s2, s22
	s_wait_kmcnt 0x0
	v_cmp_neq_f64_e64 s68, s[42:43], 0
	s_cselect_b32 s2, s35, s24
	s_ashr_i32 s53, s52, 31
	s_xor_b32 s2, s2, s33
	s_ashr_i32 s35, s34, 31
	s_sub_co_i32 s60, s2, s33
	v_cmp_neq_f64_e64 s2, s[40:41], 1.0
	s_ashr_i32 s61, s60, 31
	s_mul_u64 s[12:13], s[12:13], s[52:53]
	s_mul_u64 s[10:11], s[10:11], s[60:61]
	;; [unrolled: 1-line block ×5, first 2 shown]
	s_lshl_b64 s[12:13], s[12:13], 1
	s_lshl_b64 s[10:11], s[10:11], 1
	;; [unrolled: 1-line block ×5, first 2 shown]
	s_cmp_gt_i32 s23, 0
	s_add_nc_u64 s[12:13], s[36:37], s[12:13]
	s_cselect_b32 s22, -1, 0
	s_cmp_gt_i32 s49, 0
	s_add_nc_u64 s[10:11], s[12:13], s[10:11]
	s_cselect_b32 s24, -1, 0
	s_cmp_gt_i32 s50, 0
	s_load_b32 s69, s[0:1], 0xec
	s_cselect_b32 s33, -1, 0
	s_abs_i32 s51, s21
	s_abs_i32 s62, s27
	s_cvt_f32_u32 s52, s51
	s_cvt_f32_u32 s13, s62
	s_abs_i32 s63, s44
	s_add_nc_u64 s[8:9], s[10:11], s[8:9]
	v_rcp_iflag_f32_e32 v1, s52
	s_load_b256 s[52:59], s[0:1], 0x68
	s_wait_xcnt 0x0
	s_add_nc_u64 s[0:1], s[66:67], s[64:65]
	v_mov_b32_e32 v3, 0
	s_add_nc_u64 s[10:11], s[0:1], s[30:31]
	s_cvt_f32_u32 s0, s63
	s_or_b32 s64, s2, s68
	v_readfirstlane_b32 s12, v1
	v_rcp_iflag_f32_e32 v1, s13
	s_ashr_i32 s66, s21, 31
	s_mov_b32 s13, s3
	s_ashr_i32 s27, s27, 31
	s_mul_f32 s12, s12, 0x4f7ffffe
	s_wait_kmcnt 0x0
	s_and_b32 s65, s69, 0xffff
	s_mov_b32 s31, s3
	v_nop
	v_readfirstlane_b32 s2, v1
	v_rcp_iflag_f32_e32 v1, s0
	s_cvt_u32_f32 s1, s12
	s_sub_co_i32 s0, 0, s51
	s_ashr_i32 s44, s44, 31
	s_mul_f32 s2, s2, 0x4f7ffffe
	s_mul_i32 s0, s0, s1
	s_lshl_b64 s[16:17], s[16:17], 1
	v_nop
	v_readfirstlane_b32 s30, v1
	s_mul_hi_u32 s0, s1, s0
	s_lshl_b64 s[14:15], s[14:15], 1
	s_add_co_i32 s12, s1, s0
	s_cvt_u32_f32 s0, s2
	s_sub_co_i32 s1, 0, s62
	s_mul_f32 s2, s30, 0x4f7ffffe
	s_delay_alu instid0(SALU_CYCLE_1) | instskip(NEXT) | instid1(SALU_CYCLE_1)
	s_mul_i32 s1, s1, s0
	s_mul_hi_u32 s1, s0, s1
	s_delay_alu instid0(SALU_CYCLE_1) | instskip(SKIP_2) | instid1(SALU_CYCLE_1)
	s_cvt_u32_f32 s2, s2
	s_add_co_i32 s30, s0, s1
	s_sub_co_i32 s0, 0, s63
	s_mul_i32 s0, s0, s2
	s_delay_alu instid0(SALU_CYCLE_1)
	s_mul_hi_u32 s36, s2, s0
	s_mul_u64 s[0:1], s[18:19], s[34:35]
	s_mul_u64 s[18:19], s[54:55], s[60:61]
	s_lshl_b64 s[0:1], s[0:1], 1
	s_lshl_b64 s[34:35], s[18:19], 1
	s_add_co_i32 s18, s2, s36
	s_add_nc_u64 s[0:1], s[0:1], s[34:35]
	s_mov_b32 s19, s3
	s_add_nc_u64 s[34:35], s[38:39], s[0:1]
	s_lshl_b64 s[36:37], s[52:53], 1
	s_mov_b32 s60, 0
	s_branch .LBB29_3
.LBB29_2:                               ;   in Loop: Header=BB29_3 Depth=1
	v_add_nc_u32_e32 v0, s65, v0
	s_delay_alu instid0(VALU_DEP_1)
	v_cmp_le_i32_e32 vcc_lo, s20, v0
	s_or_b32 s60, vcc_lo, s60
	s_wait_xcnt 0x0
	s_and_not1_b32 exec_lo, exec_lo, s60
	s_cbranch_execz .LBB29_30
.LBB29_3:                               ; =>This Loop Header: Depth=1
                                        ;     Child Loop BB29_6 Depth 2
                                        ;       Child Loop BB29_9 Depth 3
                                        ;         Child Loop BB29_18 Depth 4
	v_sub_nc_u32_e32 v1, 0, v0
	s_delay_alu instid0(VALU_DEP_1) | instskip(NEXT) | instid1(VALU_DEP_1)
	v_max_i32_e32 v2, v0, v1
	v_mul_u64_e32 v[4:5], s[12:13], v[2:3]
	s_delay_alu instid0(VALU_DEP_1) | instskip(NEXT) | instid1(VALU_DEP_1)
	v_mul_lo_u32 v1, v5, s51
	v_sub_nc_u32_e32 v1, v2, v1
	v_add_nc_u32_e32 v2, 1, v5
	s_delay_alu instid0(VALU_DEP_2) | instskip(NEXT) | instid1(VALU_DEP_2)
	v_cmp_le_u32_e32 vcc_lo, s51, v1
	v_cndmask_b32_e32 v2, v5, v2, vcc_lo
	v_subrev_nc_u32_e32 v4, s51, v1
	v_ashrrev_i32_e32 v5, 31, v0
	s_delay_alu instid0(VALU_DEP_2) | instskip(NEXT) | instid1(VALU_DEP_1)
	v_dual_cndmask_b32 v1, v1, v4 :: v_dual_add_nc_u32 v4, 1, v2
	v_cmp_le_u32_e32 vcc_lo, s51, v1
	s_delay_alu instid0(VALU_DEP_2) | instskip(SKIP_1) | instid1(VALU_DEP_1)
	v_dual_cndmask_b32 v1, v2, v4, vcc_lo :: v_dual_bitop2_b32 v5, s66, v5 bitop3:0x14
	s_and_not1_b32 vcc_lo, exec_lo, s22
	v_xor_b32_e32 v1, v1, v5
	s_delay_alu instid0(VALU_DEP_1) | instskip(SKIP_1) | instid1(VALU_DEP_2)
	v_sub_nc_u32_e32 v6, v1, v5
	v_mov_b64_e32 v[4:5], 0
	v_mul_lo_u32 v1, v6, s21
	s_delay_alu instid0(VALU_DEP_1)
	v_sub_nc_u32_e32 v1, v0, v1
	s_cbranch_vccnz .LBB29_26
; %bb.4:                                ;   in Loop: Header=BB29_3 Depth=1
	s_delay_alu instid0(VALU_DEP_1)
	v_dual_add_nc_u32 v7, s47, v6 :: v_dual_add_nc_u32 v12, s48, v1
	s_mov_b32 s2, 0
	s_mov_b64 s[0:1], s[34:35]
	s_branch .LBB29_6
.LBB29_5:                               ;   in Loop: Header=BB29_6 Depth=2
	s_add_co_i32 s2, s2, 1
	s_add_nc_u64 s[0:1], s[0:1], s[36:37]
	s_cmp_eq_u32 s2, s23
	s_cbranch_scc1 .LBB29_26
.LBB29_6:                               ;   Parent Loop BB29_3 Depth=1
                                        ; =>  This Loop Header: Depth=2
                                        ;       Child Loop BB29_9 Depth 3
                                        ;         Child Loop BB29_18 Depth 4
	s_and_not1_b32 vcc_lo, exec_lo, s24
	s_cbranch_vccnz .LBB29_5
; %bb.7:                                ;   in Loop: Header=BB29_6 Depth=2
	s_mul_u64 s[38:39], s[28:29], s[2:3]
	s_mov_b32 s61, 0
	s_lshl_b64 s[38:39], s[38:39], 1
	s_mov_b64 s[52:53], s[0:1]
	s_add_nc_u64 s[38:39], s[10:11], s[38:39]
	s_branch .LBB29_9
.LBB29_8:                               ;   in Loop: Header=BB29_9 Depth=3
	s_add_co_i32 s61, s61, 1
	s_add_nc_u64 s[52:53], s[52:53], s[16:17]
	s_cmp_eq_u32 s61, s49
	s_cbranch_scc1 .LBB29_5
.LBB29_9:                               ;   Parent Loop BB29_3 Depth=1
                                        ;     Parent Loop BB29_6 Depth=2
                                        ; =>    This Loop Header: Depth=3
                                        ;         Child Loop BB29_18 Depth 4
	s_mul_i32 s54, s45, s61
	s_mov_b32 s55, exec_lo
	v_subrev_nc_u32_e32 v11, s54, v7
	s_mov_b32 s54, 0
                                        ; implicit-def: $vgpr8
                                        ; implicit-def: $vgpr9
                                        ; implicit-def: $vgpr2
                                        ; implicit-def: $vgpr10
	s_delay_alu instid0(VALU_DEP_1)
	v_cmpx_lt_i32_e32 -1, v11
	s_xor_b32 s55, exec_lo, s55
	s_cbranch_execnz .LBB29_13
; %bb.10:                               ;   in Loop: Header=BB29_9 Depth=3
	s_and_not1_saveexec_b32 s55, s55
	s_cbranch_execnz .LBB29_14
.LBB29_11:                              ;   in Loop: Header=BB29_9 Depth=3
	s_or_b32 exec_lo, exec_lo, s55
	v_mov_b32_e32 v11, 1
	s_and_saveexec_b32 s55, s54
	s_cbranch_execnz .LBB29_15
.LBB29_12:                              ;   in Loop: Header=BB29_9 Depth=3
	s_or_b32 exec_lo, exec_lo, s55
	s_delay_alu instid0(SALU_CYCLE_1)
	s_and_not1_b32 vcc_lo, exec_lo, s33
	s_cbranch_vccz .LBB29_16
	s_branch .LBB29_8
.LBB29_13:                              ;   in Loop: Header=BB29_9 Depth=3
	v_sub_nc_u32_e32 v2, 0, v11
	s_delay_alu instid0(VALU_DEP_1) | instskip(NEXT) | instid1(VALU_DEP_1)
	v_max_i32_e32 v2, v11, v2
	v_mul_u64_e32 v[8:9], s[30:31], v[2:3]
	s_delay_alu instid0(VALU_DEP_1) | instskip(NEXT) | instid1(VALU_DEP_1)
	v_mul_lo_u32 v8, v9, s62
	v_dual_sub_nc_u32 v2, v2, v8 :: v_dual_ashrrev_i32 v8, 31, v11
	s_delay_alu instid0(VALU_DEP_1) | instskip(SKIP_1) | instid1(VALU_DEP_2)
	v_subrev_nc_u32_e32 v10, s62, v2
	v_cmp_le_u32_e32 vcc_lo, s62, v2
	v_cndmask_b32_e32 v13, v2, v10, vcc_lo
	s_delay_alu instid0(VALU_DEP_1) | instskip(SKIP_1) | instid1(VALU_DEP_2)
	v_subrev_nc_u32_e32 v14, s62, v13
	v_cmp_le_u32_e32 vcc_lo, s62, v13
	v_cndmask_b32_e32 v11, v13, v14, vcc_lo
	s_delay_alu instid0(VALU_DEP_1) | instskip(NEXT) | instid1(VALU_DEP_1)
	v_xor_b32_e32 v11, v11, v8
	v_sub_nc_u32_e32 v11, v11, v8
	s_delay_alu instid0(VALU_DEP_1)
	v_cmp_ne_u32_e32 vcc_lo, 0, v11
                                        ; implicit-def: $vgpr11
	s_and_b32 s54, vcc_lo, exec_lo
	s_and_not1_saveexec_b32 s55, s55
	s_cbranch_execz .LBB29_11
.LBB29_14:                              ;   in Loop: Header=BB29_9 Depth=3
	v_sub_nc_u32_e32 v2, 0, v11
	s_or_b32 s54, s54, exec_lo
	s_delay_alu instid0(VALU_DEP_1) | instskip(NEXT) | instid1(VALU_DEP_1)
	v_max_i32_e32 v2, v11, v2
	v_mul_u64_e32 v[8:9], s[30:31], v[2:3]
	s_delay_alu instid0(VALU_DEP_1) | instskip(NEXT) | instid1(VALU_DEP_1)
	v_mul_lo_u32 v8, v9, s62
	v_dual_sub_nc_u32 v2, v2, v8 :: v_dual_ashrrev_i32 v8, 31, v11
	s_delay_alu instid0(VALU_DEP_1)
	v_subrev_nc_u32_e32 v10, s62, v2
	s_or_b32 exec_lo, exec_lo, s55
	v_mov_b32_e32 v11, 1
	s_and_saveexec_b32 s55, s54
	s_cbranch_execz .LBB29_12
.LBB29_15:                              ;   in Loop: Header=BB29_9 Depth=3
	v_mov_b32_e32 v11, 0
	s_or_b32 exec_lo, exec_lo, s55
	s_delay_alu instid0(SALU_CYCLE_1)
	s_and_not1_b32 vcc_lo, exec_lo, s33
	s_cbranch_vccnz .LBB29_8
.LBB29_16:                              ;   in Loop: Header=BB29_9 Depth=3
	v_cmp_le_u32_e32 vcc_lo, s62, v2
	v_add_nc_u32_e32 v13, 1, v9
	s_mov_b64 s[54:55], s[52:53]
	s_mov_b32 s67, s50
	v_dual_cndmask_b32 v2, v2, v10, vcc_lo :: v_dual_bitop2_b32 v8, s27, v8 bitop3:0x14
	s_delay_alu instid0(VALU_DEP_2) | instskip(NEXT) | instid1(VALU_DEP_2)
	v_cndmask_b32_e32 v9, v9, v13, vcc_lo
	v_cmp_le_u32_e32 vcc_lo, s62, v2
	s_delay_alu instid0(VALU_DEP_2) | instskip(NEXT) | instid1(VALU_DEP_1)
	v_add_nc_u32_e32 v10, 1, v9
	v_cndmask_b32_e32 v2, v9, v10, vcc_lo
	s_delay_alu instid0(VALU_DEP_1) | instskip(NEXT) | instid1(VALU_DEP_1)
	v_xor_b32_e32 v2, v2, v8
	v_sub_nc_u32_e32 v8, v2, v8
	s_delay_alu instid0(VALU_DEP_1) | instskip(SKIP_1) | instid1(VALU_DEP_1)
	v_cmp_gt_i32_e32 vcc_lo, s25, v8
	v_dual_cndmask_b32 v13, 0, v11, vcc_lo :: v_dual_ashrrev_i32 v9, 31, v8
	v_mul_u64_e32 v[14:15], s[58:59], v[8:9]
	s_delay_alu instid0(VALU_DEP_1)
	v_lshl_add_u64 v[8:9], v[14:15], 1, s[38:39]
	v_mov_b32_e32 v14, v12
	s_branch .LBB29_18
.LBB29_17:                              ;   in Loop: Header=BB29_18 Depth=4
	s_or_b32 exec_lo, exec_lo, s68
	v_subrev_nc_u32_e32 v14, s46, v14
	s_add_co_i32 s67, s67, -1
	s_add_nc_u64 s[54:55], s[54:55], s[14:15]
	s_cmp_eq_u32 s67, 0
	s_cbranch_scc1 .LBB29_8
.LBB29_18:                              ;   Parent Loop BB29_3 Depth=1
                                        ;     Parent Loop BB29_6 Depth=2
                                        ;       Parent Loop BB29_9 Depth=3
                                        ; =>      This Inner Loop Header: Depth=4
	s_delay_alu instid0(VALU_DEP_1)
	v_sub_nc_u32_e32 v16, 0, v14
	s_mov_b32 s68, 0
	s_mov_b32 s69, exec_lo
                                        ; implicit-def: $vgpr10
                                        ; implicit-def: $vgpr11
                                        ; implicit-def: $vgpr2
                                        ; implicit-def: $vgpr15
	v_cmpx_lt_i32_e32 -1, v14
	s_xor_b32 s69, exec_lo, s69
	s_cbranch_execnz .LBB29_24
; %bb.19:                               ;   in Loop: Header=BB29_18 Depth=4
	s_and_not1_saveexec_b32 s69, s69
	s_cbranch_execnz .LBB29_25
.LBB29_20:                              ;   in Loop: Header=BB29_18 Depth=4
	s_or_b32 exec_lo, exec_lo, s69
	v_mov_b32_e32 v16, 1
	s_and_saveexec_b32 s69, s68
.LBB29_21:                              ;   in Loop: Header=BB29_18 Depth=4
	v_mov_b32_e32 v16, 0
.LBB29_22:                              ;   in Loop: Header=BB29_18 Depth=4
	s_or_b32 exec_lo, exec_lo, s69
	v_add_nc_u32_e32 v17, 1, v11
	v_cmp_le_u32_e32 vcc_lo, s63, v2
	s_mov_b32 s68, exec_lo
	s_delay_alu instid0(VALU_DEP_2) | instskip(NEXT) | instid1(VALU_DEP_1)
	v_dual_cndmask_b32 v11, v11, v17 :: v_dual_cndmask_b32 v2, v2, v15
	v_add_nc_u32_e32 v15, 1, v11
	s_delay_alu instid0(VALU_DEP_2) | instskip(NEXT) | instid1(VALU_DEP_2)
	v_cmp_le_u32_e32 vcc_lo, s63, v2
	v_dual_cndmask_b32 v2, v11, v15, vcc_lo :: v_dual_bitop2_b32 v10, s44, v10 bitop3:0x14
	s_delay_alu instid0(VALU_DEP_1) | instskip(NEXT) | instid1(VALU_DEP_1)
	v_xor_b32_e32 v2, v2, v10
	v_sub_nc_u32_e32 v10, v2, v10
	s_delay_alu instid0(VALU_DEP_1) | instskip(SKIP_1) | instid1(VALU_DEP_1)
	v_cmp_gt_i32_e32 vcc_lo, s26, v10
	v_cndmask_b32_e32 v2, 0, v16, vcc_lo
	v_and_b32_e32 v2, v2, v13
	s_delay_alu instid0(VALU_DEP_1) | instskip(NEXT) | instid1(VALU_DEP_1)
	v_and_b32_e32 v2, 1, v2
	v_cmpx_eq_u32_e32 1, v2
	s_cbranch_execz .LBB29_17
; %bb.23:                               ;   in Loop: Header=BB29_18 Depth=4
	v_ashrrev_i32_e32 v11, 31, v10
	s_load_u16 s69, s[54:55], 0x0
	s_delay_alu instid0(VALU_DEP_1) | instskip(SKIP_2) | instid1(VALU_DEP_1)
	v_mul_u64_e32 v[10:11], s[56:57], v[10:11]
	s_wait_kmcnt 0x0
	s_lshl_b32 s69, s69, 16
	v_lshl_add_u64 v[10:11], v[10:11], 1, v[8:9]
	global_load_u16 v2, v[10:11], off
	s_wait_xcnt 0x0
	v_cvt_f64_f32_e32 v[10:11], s69
	s_wait_loadcnt 0x0
	v_lshlrev_b32_e32 v2, 16, v2
	s_delay_alu instid0(VALU_DEP_1) | instskip(NEXT) | instid1(VALU_DEP_1)
	v_cvt_f64_f32_e32 v[16:17], v2
	v_fmac_f64_e32 v[4:5], v[16:17], v[10:11]
	s_branch .LBB29_17
.LBB29_24:                              ;   in Loop: Header=BB29_18 Depth=4
	v_max_i32_e32 v2, v14, v16
	s_delay_alu instid0(VALU_DEP_1) | instskip(NEXT) | instid1(VALU_DEP_1)
	v_mul_u64_e32 v[10:11], s[18:19], v[2:3]
	v_mul_lo_u32 v10, v11, s63
	s_delay_alu instid0(VALU_DEP_1) | instskip(SKIP_1) | instid1(VALU_DEP_2)
	v_sub_nc_u32_e32 v2, v2, v10
	v_ashrrev_i32_e32 v10, 31, v14
	v_subrev_nc_u32_e32 v15, s63, v2
	v_cmp_le_u32_e32 vcc_lo, s63, v2
	s_delay_alu instid0(VALU_DEP_2) | instskip(NEXT) | instid1(VALU_DEP_1)
	v_cndmask_b32_e32 v16, v2, v15, vcc_lo
	v_subrev_nc_u32_e32 v17, s63, v16
	v_cmp_le_u32_e32 vcc_lo, s63, v16
	s_delay_alu instid0(VALU_DEP_2) | instskip(NEXT) | instid1(VALU_DEP_1)
	v_cndmask_b32_e32 v16, v16, v17, vcc_lo
	v_xor_b32_e32 v16, v16, v10
	s_delay_alu instid0(VALU_DEP_1) | instskip(NEXT) | instid1(VALU_DEP_1)
	v_sub_nc_u32_e32 v16, v16, v10
	v_cmp_ne_u32_e32 vcc_lo, 0, v16
                                        ; implicit-def: $vgpr16
	s_and_b32 s68, vcc_lo, exec_lo
	s_and_not1_saveexec_b32 s69, s69
	s_cbranch_execz .LBB29_20
.LBB29_25:                              ;   in Loop: Header=BB29_18 Depth=4
	v_max_i32_e32 v2, v14, v16
	s_or_b32 s68, s68, exec_lo
	s_delay_alu instid0(VALU_DEP_1) | instskip(NEXT) | instid1(VALU_DEP_1)
	v_mul_u64_e32 v[10:11], s[18:19], v[2:3]
	v_mul_lo_u32 v10, v11, s63
	s_delay_alu instid0(VALU_DEP_1) | instskip(SKIP_1) | instid1(VALU_DEP_2)
	v_sub_nc_u32_e32 v2, v2, v10
	v_ashrrev_i32_e32 v10, 31, v14
	v_subrev_nc_u32_e32 v15, s63, v2
	s_or_b32 exec_lo, exec_lo, s69
	v_mov_b32_e32 v16, 1
	s_and_saveexec_b32 s69, s68
	s_cbranch_execnz .LBB29_21
	s_branch .LBB29_22
.LBB29_26:                              ;   in Loop: Header=BB29_3 Depth=1
	v_ashrrev_i32_e32 v7, 31, v6
	s_and_b32 vcc_lo, exec_lo, s64
	s_mov_b32 s0, -1
	s_delay_alu instid0(VALU_DEP_1) | instskip(NEXT) | instid1(VALU_DEP_1)
	v_mul_u64_e32 v[6:7], s[6:7], v[6:7]
	v_mad_nc_u64_u32 v[6:7], s4, v1, v[6:7]
	s_delay_alu instid0(VALU_DEP_1) | instskip(SKIP_1) | instid1(VALU_DEP_1)
	v_mad_u32 v2, s5, v1, v7
	v_ashrrev_i32_e32 v1, 31, v1
	v_mad_u32 v7, s4, v1, v2
	s_cbranch_vccz .LBB29_28
; %bb.27:                               ;   in Loop: Header=BB29_3 Depth=1
	s_delay_alu instid0(VALU_DEP_1) | instskip(SKIP_3) | instid1(VALU_DEP_1)
	v_lshl_add_u64 v[8:9], v[6:7], 1, s[8:9]
	global_load_u16 v1, v[8:9], off
	s_wait_loadcnt 0x0
	v_lshlrev_b32_e32 v1, 16, v1
	v_cvt_f64_f32_e32 v[10:11], v1
	s_delay_alu instid0(VALU_DEP_1) | instskip(NEXT) | instid1(VALU_DEP_1)
	v_mul_f64_e32 v[10:11], s[42:43], v[10:11]
	v_fmac_f64_e32 v[10:11], s[40:41], v[4:5]
	s_delay_alu instid0(VALU_DEP_1) | instskip(NEXT) | instid1(VALU_DEP_1)
	v_cvt_f32_f64_e32 v1, v[10:11]
	v_and_b32_e32 v2, 0x7f800000, v1
	v_and_b32_e32 v10, 0xffff, v1
	v_lshrrev_b32_e32 v1, 16, v1
	s_delay_alu instid0(VALU_DEP_3) | instskip(NEXT) | instid1(VALU_DEP_3)
	v_cmp_eq_u32_e32 vcc_lo, 0x7f800000, v2
	v_cmp_ne_u32_e64 s0, 0, v10
	s_and_b32 s0, vcc_lo, s0
	s_delay_alu instid0(SALU_CYCLE_1) | instskip(SKIP_1) | instid1(VALU_DEP_1)
	v_cndmask_b32_e64 v2, 0, 1, s0
	s_mov_b32 s0, 0
	v_or_b32_e32 v1, v1, v2
	global_store_b16 v[8:9], v1, off
.LBB29_28:                              ;   in Loop: Header=BB29_3 Depth=1
	s_and_not1_b32 vcc_lo, exec_lo, s0
	s_cbranch_vccnz .LBB29_2
; %bb.29:                               ;   in Loop: Header=BB29_3 Depth=1
	s_wait_xcnt 0x0
	v_cvt_f32_f64_e32 v1, v[4:5]
	s_delay_alu instid0(VALU_DEP_1) | instskip(SKIP_2) | instid1(VALU_DEP_3)
	v_and_b32_e32 v2, 0x7f800000, v1
	v_and_b32_e32 v4, 0xffff, v1
	v_lshrrev_b32_e32 v1, 16, v1
	v_cmp_eq_u32_e32 vcc_lo, 0x7f800000, v2
	s_delay_alu instid0(VALU_DEP_3) | instskip(SKIP_2) | instid1(SALU_CYCLE_1)
	v_cmp_ne_u32_e64 s0, 0, v4
	v_lshl_add_u64 v[4:5], v[6:7], 1, s[8:9]
	s_and_b32 s0, vcc_lo, s0
	v_cndmask_b32_e64 v2, 0, 1, s0
	s_delay_alu instid0(VALU_DEP_1)
	v_or_b32_e32 v1, v1, v2
	global_store_b16 v[4:5], v1, off
	s_branch .LBB29_2
.LBB29_30:
	s_endpgm
	.section	.rodata,"a",@progbits
	.p2align	6, 0x0
	.amdhsa_kernel naive_conv_ab_nonpacked_bwd_nchw_ushort_double_ushort
		.amdhsa_group_segment_fixed_size 0
		.amdhsa_private_segment_fixed_size 0
		.amdhsa_kernarg_size 480
		.amdhsa_user_sgpr_count 2
		.amdhsa_user_sgpr_dispatch_ptr 0
		.amdhsa_user_sgpr_queue_ptr 0
		.amdhsa_user_sgpr_kernarg_segment_ptr 1
		.amdhsa_user_sgpr_dispatch_id 0
		.amdhsa_user_sgpr_kernarg_preload_length 0
		.amdhsa_user_sgpr_kernarg_preload_offset 0
		.amdhsa_user_sgpr_private_segment_size 0
		.amdhsa_wavefront_size32 1
		.amdhsa_uses_dynamic_stack 0
		.amdhsa_enable_private_segment 0
		.amdhsa_system_sgpr_workgroup_id_x 1
		.amdhsa_system_sgpr_workgroup_id_y 0
		.amdhsa_system_sgpr_workgroup_id_z 0
		.amdhsa_system_sgpr_workgroup_info 0
		.amdhsa_system_vgpr_workitem_id 0
		.amdhsa_next_free_vgpr 18
		.amdhsa_next_free_sgpr 70
		.amdhsa_named_barrier_count 0
		.amdhsa_reserve_vcc 1
		.amdhsa_float_round_mode_32 0
		.amdhsa_float_round_mode_16_64 0
		.amdhsa_float_denorm_mode_32 3
		.amdhsa_float_denorm_mode_16_64 3
		.amdhsa_fp16_overflow 0
		.amdhsa_memory_ordered 1
		.amdhsa_forward_progress 1
		.amdhsa_inst_pref_size 18
		.amdhsa_round_robin_scheduling 0
		.amdhsa_exception_fp_ieee_invalid_op 0
		.amdhsa_exception_fp_denorm_src 0
		.amdhsa_exception_fp_ieee_div_zero 0
		.amdhsa_exception_fp_ieee_overflow 0
		.amdhsa_exception_fp_ieee_underflow 0
		.amdhsa_exception_fp_ieee_inexact 0
		.amdhsa_exception_int_div_zero 0
	.end_amdhsa_kernel
	.text
.Lfunc_end29:
	.size	naive_conv_ab_nonpacked_bwd_nchw_ushort_double_ushort, .Lfunc_end29-naive_conv_ab_nonpacked_bwd_nchw_ushort_double_ushort
                                        ; -- End function
	.set naive_conv_ab_nonpacked_bwd_nchw_ushort_double_ushort.num_vgpr, 18
	.set naive_conv_ab_nonpacked_bwd_nchw_ushort_double_ushort.num_agpr, 0
	.set naive_conv_ab_nonpacked_bwd_nchw_ushort_double_ushort.numbered_sgpr, 70
	.set naive_conv_ab_nonpacked_bwd_nchw_ushort_double_ushort.num_named_barrier, 0
	.set naive_conv_ab_nonpacked_bwd_nchw_ushort_double_ushort.private_seg_size, 0
	.set naive_conv_ab_nonpacked_bwd_nchw_ushort_double_ushort.uses_vcc, 1
	.set naive_conv_ab_nonpacked_bwd_nchw_ushort_double_ushort.uses_flat_scratch, 0
	.set naive_conv_ab_nonpacked_bwd_nchw_ushort_double_ushort.has_dyn_sized_stack, 0
	.set naive_conv_ab_nonpacked_bwd_nchw_ushort_double_ushort.has_recursion, 0
	.set naive_conv_ab_nonpacked_bwd_nchw_ushort_double_ushort.has_indirect_call, 0
	.section	.AMDGPU.csdata,"",@progbits
; Kernel info:
; codeLenInByte = 2188
; TotalNumSgprs: 72
; NumVgprs: 18
; ScratchSize: 0
; MemoryBound: 0
; FloatMode: 240
; IeeeMode: 1
; LDSByteSize: 0 bytes/workgroup (compile time only)
; SGPRBlocks: 0
; VGPRBlocks: 1
; NumSGPRsForWavesPerEU: 72
; NumVGPRsForWavesPerEU: 18
; NamedBarCnt: 0
; Occupancy: 16
; WaveLimiterHint : 0
; COMPUTE_PGM_RSRC2:SCRATCH_EN: 0
; COMPUTE_PGM_RSRC2:USER_SGPR: 2
; COMPUTE_PGM_RSRC2:TRAP_HANDLER: 0
; COMPUTE_PGM_RSRC2:TGID_X_EN: 1
; COMPUTE_PGM_RSRC2:TGID_Y_EN: 0
; COMPUTE_PGM_RSRC2:TGID_Z_EN: 0
; COMPUTE_PGM_RSRC2:TIDIG_COMP_CNT: 0
	.text
	.protected	naive_conv_ab_packed_bwd_nhwc_float_double_float ; -- Begin function naive_conv_ab_packed_bwd_nhwc_float_double_float
	.globl	naive_conv_ab_packed_bwd_nhwc_float_double_float
	.p2align	8
	.type	naive_conv_ab_packed_bwd_nhwc_float_double_float,@function
naive_conv_ab_packed_bwd_nhwc_float_double_float: ; @naive_conv_ab_packed_bwd_nhwc_float_double_float
; %bb.0:
	s_load_b512 s[4:19], s[0:1], 0xa0
	s_bfe_u32 s2, ttmp6, 0x4000c
	s_and_b32 s3, ttmp6, 15
	s_add_co_i32 s2, s2, 1
	s_getreg_b32 s20, hwreg(HW_REG_IB_STS2, 6, 4)
	s_mul_i32 s2, ttmp9, s2
	s_mov_b32 s29, 0
	s_add_co_i32 s3, s3, s2
	s_cmp_eq_u32 s20, 0
	s_cselect_b32 s3, ttmp9, s3
	s_delay_alu instid0(SALU_CYCLE_1) | instskip(SKIP_2) | instid1(SALU_CYCLE_1)
	s_abs_i32 s22, s3
	s_wait_kmcnt 0x0
	s_abs_i32 s2, s4
	s_cvt_f32_u32 s20, s2
	s_sub_co_i32 s21, 0, s2
	s_delay_alu instid0(SALU_CYCLE_2) | instskip(SKIP_1) | instid1(TRANS32_DEP_1)
	v_rcp_iflag_f32_e32 v1, s20
	v_nop
	v_readfirstlane_b32 s20, v1
	s_mul_f32 s20, s20, 0x4f7ffffe
	s_delay_alu instid0(SALU_CYCLE_3) | instskip(NEXT) | instid1(SALU_CYCLE_3)
	s_cvt_u32_f32 s20, s20
	s_mul_i32 s21, s21, s20
	s_delay_alu instid0(SALU_CYCLE_1) | instskip(NEXT) | instid1(SALU_CYCLE_1)
	s_mul_hi_u32 s21, s20, s21
	s_add_co_i32 s20, s20, s21
	s_delay_alu instid0(SALU_CYCLE_1) | instskip(NEXT) | instid1(SALU_CYCLE_1)
	s_mul_hi_u32 s20, s22, s20
	s_mul_i32 s21, s20, s2
	s_delay_alu instid0(SALU_CYCLE_1)
	s_sub_co_i32 s21, s22, s21
	s_add_co_i32 s22, s20, 1
	s_sub_co_i32 s23, s21, s2
	s_cmp_ge_u32 s21, s2
	s_cselect_b32 s20, s22, s20
	s_cselect_b32 s21, s23, s21
	s_add_co_i32 s22, s20, 1
	s_cmp_ge_u32 s21, s2
	s_cselect_b32 s20, s22, s20
	s_abs_i32 s30, s6
	s_mov_b32 s22, exec_lo
	s_cvt_f32_u32 s2, s30
	s_delay_alu instid0(SALU_CYCLE_3) | instskip(SKIP_1) | instid1(SALU_CYCLE_1)
	v_rcp_iflag_f32_e32 v1, s2
	s_mul_i32 s2, s19, s8
	s_mul_i32 s6, s2, s5
	v_nop
	s_delay_alu instid0(TRANS32_DEP_1)
	v_readfirstlane_b32 s21, v1
	v_cmpx_gt_i32_e64 s6, v0
	s_cbranch_execz .LBB30_28
; %bb.1:
	s_mul_f32 s21, s21, 0x4f7ffffe
	s_xor_b32 s22, s3, s4
	s_sub_co_i32 s23, 0, s30
	s_ashr_i32 s22, s22, 31
	s_cvt_u32_f32 s21, s21
	s_xor_b32 s20, s20, s22
	s_mov_b32 s35, s29
	s_sub_co_i32 s31, s20, s22
	s_mul_i32 s23, s23, s21
	s_abs_i32 s28, s31
	s_mul_hi_u32 s20, s21, s23
	s_ashr_i32 s38, s31, 31
	s_add_co_i32 s34, s21, s20
	s_mul_i32 s31, s31, s4
	s_mul_u64 s[34:35], s[28:29], s[34:35]
	s_load_b256 s[20:27], s[0:1], 0x0
	s_mul_i32 s33, s35, s30
	s_sub_co_i32 s34, s3, s31
	s_sub_co_i32 s28, s28, s33
	s_mul_i32 s33, s19, s7
	s_sub_co_i32 s3, s28, s30
	s_cmp_ge_u32 s28, s30
	s_mov_b32 s36, s4
	s_cselect_b32 s3, s3, s28
	s_mov_b32 s46, s17
	s_sub_co_i32 s19, s3, s30
	s_cmp_ge_u32 s3, s30
	s_mov_b32 s30, s5
	s_cselect_b32 s3, s19, s3
	s_ashr_i32 s37, s4, 31
	s_xor_b32 s4, s3, s38
	s_ashr_i32 s31, s5, 31
	s_sub_co_i32 s42, s4, s38
	s_ashr_i32 s3, s2, 31
	s_ashr_i32 s43, s42, 31
	;; [unrolled: 1-line block ×3, first 2 shown]
	s_mul_u64 s[36:37], s[42:43], s[36:37]
	s_mul_u64 s[38:39], s[2:3], s[30:31]
	s_add_nc_u64 s[36:37], s[36:37], s[34:35]
	s_wait_kmcnt 0x0
	v_cmp_neq_f64_e64 s28, s[24:25], 1.0
	s_mul_u64 s[36:37], s[38:39], s[36:37]
	v_cmp_neq_f64_e64 s38, s[26:27], 0
	s_ashr_i32 s5, s9, 31
	s_ashr_i32 s31, s10, 31
	;; [unrolled: 1-line block ×3, first 2 shown]
	s_lshl_b64 s[36:37], s[36:37], 2
	s_cmp_lt_i32 s17, 1
	s_mov_b32 s30, s10
	s_cselect_b32 s55, -1, 0
	s_add_co_i32 s15, s34, s15
	s_cmp_gt_i32 s18, 0
	s_clause 0x1
	s_load_b64 s[34:35], s[0:1], 0x20
	s_load_b32 s39, s[0:1], 0xec
	s_cselect_b32 s56, -1, 0
	s_cmp_gt_i32 s7, 0
	s_wait_xcnt 0x0
	s_add_nc_u64 s[0:1], s[20:21], s[36:37]
	s_cselect_b32 s57, -1, 0
	s_abs_i32 s58, s2
	s_abs_i32 s59, s8
	s_cvt_f32_u32 s4, s58
	s_abs_i32 s60, s11
	s_abs_i32 s63, s12
	s_cvt_f32_u32 s21, s60
	v_rcp_iflag_f32_e32 v1, s4
	s_mov_b32 s4, s9
	s_cvt_f32_u32 s9, s59
	s_ashr_i32 s19, s18, 31
	s_ashr_i32 s47, s17, 31
	;; [unrolled: 1-line block ×3, first 2 shown]
	v_rcp_iflag_f32_e32 v2, s9
	v_readfirstlane_b32 s10, v1
	v_rcp_iflag_f32_e32 v1, s21
	s_sub_co_i32 s21, 0, s58
	s_ashr_i32 s9, s8, 31
	s_or_b32 s61, s28, s38
	s_cvt_f32_u32 s28, s63
	v_readfirstlane_b32 s20, v2
	s_mul_f32 s10, s10, 0x4f7ffffe
	s_mul_u64 s[48:49], s[18:19], s[8:9]
	v_rcp_iflag_f32_e32 v2, s28
	v_nop
	v_readfirstlane_b32 s28, v1
	s_mul_f32 s20, s20, 0x4f7ffffe
	s_cvt_u32_f32 s10, s10
	s_ashr_i32 s45, s7, 31
	s_mov_b32 s44, s7
	s_cvt_u32_f32 s36, s20
	s_mul_i32 s21, s21, s10
	s_sub_co_i32 s20, 0, s59
	v_readfirstlane_b32 s38, v2
	s_mul_hi_u32 s21, s10, s21
	s_mul_i32 s37, s20, s36
	s_mul_f32 s28, s28, 0x4f7ffffe
	s_add_co_i32 s20, s10, s21
	s_mul_hi_u32 s10, s36, s37
	s_mul_u64 s[50:51], s[30:31], s[4:5]
	s_add_co_i32 s36, s36, s10
	s_cvt_u32_f32 s10, s28
	s_mul_f32 s28, s38, 0x4f7ffffe
	s_sub_co_i32 s38, 0, s60
	s_mul_u64 s[52:53], s[48:49], s[46:47]
	s_mul_i32 s38, s38, s10
	s_cvt_u32_f32 s28, s28
	s_mul_hi_u32 s11, s10, s38
	s_sub_co_i32 s38, 0, s63
	v_mov_b32_e32 v3, 0
	s_mul_i32 s38, s38, s28
	s_lshl_b64 s[40:41], s[44:45], 2
	s_mul_hi_u32 s38, s28, s38
	s_mul_u64 s[42:43], s[50:51], s[42:43]
	s_mul_u64 s[44:45], s[52:53], s[44:45]
	s_wait_kmcnt 0x0
	s_and_b32 s62, s39, 0xffff
	s_mov_b32 s21, s29
	s_mov_b32 s37, s29
	s_add_co_i32 s10, s10, s11
	s_mov_b32 s11, s29
	s_ashr_i32 s12, s12, 31
	s_add_co_i32 s38, s28, s38
	s_mov_b32 s39, s29
	s_lshl_b64 s[42:43], s[42:43], 2
	s_lshl_b64 s[44:45], s[44:45], 2
	;; [unrolled: 1-line block ×5, first 2 shown]
	s_mov_b32 s5, 0
	s_branch .LBB30_3
.LBB30_2:                               ;   in Loop: Header=BB30_3 Depth=1
	s_delay_alu instid0(VALU_DEP_1) | instskip(SKIP_1) | instid1(VALU_DEP_1)
	v_cvt_f32_f64_e32 v1, v[10:11]
	v_add_nc_u32_e32 v0, s62, v0
	v_cmp_le_i32_e32 vcc_lo, s6, v0
	s_or_b32 s5, vcc_lo, s5
	global_store_b32 v[4:5], v1, off
	s_wait_xcnt 0x0
	s_and_not1_b32 exec_lo, exec_lo, s5
	s_cbranch_execz .LBB30_28
.LBB30_3:                               ; =>This Loop Header: Depth=1
                                        ;     Child Loop BB30_8 Depth 2
                                        ;       Child Loop BB30_17 Depth 3
                                        ;         Child Loop BB30_24 Depth 4
	v_sub_nc_u32_e32 v1, 0, v0
	s_mov_b32 s19, -1
	s_delay_alu instid0(VALU_DEP_1) | instskip(NEXT) | instid1(VALU_DEP_1)
	v_max_i32_e32 v2, v0, v1
	v_mul_u64_e32 v[4:5], s[20:21], v[2:3]
	s_delay_alu instid0(VALU_DEP_1) | instskip(NEXT) | instid1(VALU_DEP_1)
	v_mul_lo_u32 v1, v5, s58
	v_sub_nc_u32_e32 v1, v2, v1
	v_add_nc_u32_e32 v2, 1, v5
	s_delay_alu instid0(VALU_DEP_2) | instskip(NEXT) | instid1(VALU_DEP_2)
	v_cmp_le_u32_e32 vcc_lo, s58, v1
	v_cndmask_b32_e32 v2, v5, v2, vcc_lo
	v_subrev_nc_u32_e32 v4, s58, v1
	v_ashrrev_i32_e32 v5, 31, v0
	s_delay_alu instid0(VALU_DEP_2) | instskip(NEXT) | instid1(VALU_DEP_1)
	v_dual_cndmask_b32 v1, v1, v4 :: v_dual_add_nc_u32 v4, 1, v2
	v_cmp_le_u32_e32 vcc_lo, s58, v1
	s_delay_alu instid0(VALU_DEP_2) | instskip(NEXT) | instid1(VALU_DEP_1)
	v_dual_cndmask_b32 v1, v2, v4, vcc_lo :: v_dual_bitop2_b32 v5, s3, v5 bitop3:0x14
	v_xor_b32_e32 v1, v1, v5
	s_delay_alu instid0(VALU_DEP_1) | instskip(NEXT) | instid1(VALU_DEP_1)
	v_sub_nc_u32_e32 v4, v1, v5
	v_mul_lo_u32 v1, v4, s2
	s_delay_alu instid0(VALU_DEP_1) | instskip(NEXT) | instid1(VALU_DEP_1)
	v_sub_nc_u32_e32 v12, v0, v1
	v_sub_nc_u32_e32 v1, 0, v12
	s_delay_alu instid0(VALU_DEP_1) | instskip(NEXT) | instid1(VALU_DEP_1)
	v_max_i32_e32 v2, v12, v1
	v_mul_u64_e32 v[6:7], s[36:37], v[2:3]
	s_delay_alu instid0(VALU_DEP_1) | instskip(NEXT) | instid1(VALU_DEP_1)
	v_mul_lo_u32 v1, v7, s59
	v_dual_sub_nc_u32 v1, v2, v1 :: v_dual_add_nc_u32 v2, 1, v7
	v_ashrrev_i32_e32 v13, 31, v12
	s_delay_alu instid0(VALU_DEP_2) | instskip(SKIP_1) | instid1(VALU_DEP_3)
	v_subrev_nc_u32_e32 v5, s59, v1
	v_cmp_le_u32_e32 vcc_lo, s59, v1
	v_dual_cndmask_b32 v2, v7, v2, vcc_lo :: v_dual_bitop2_b32 v6, s9, v13 bitop3:0x14
	s_delay_alu instid0(VALU_DEP_1) | instskip(NEXT) | instid1(VALU_DEP_1)
	v_dual_cndmask_b32 v1, v1, v5, vcc_lo :: v_dual_add_nc_u32 v5, 1, v2
	v_cmp_le_u32_e32 vcc_lo, s59, v1
	s_delay_alu instid0(VALU_DEP_2) | instskip(SKIP_1) | instid1(VALU_DEP_1)
	v_cndmask_b32_e32 v1, v2, v5, vcc_lo
	s_and_not1_b32 vcc_lo, exec_lo, s55
	v_xor_b32_e32 v1, v1, v6
	s_delay_alu instid0(VALU_DEP_1) | instskip(NEXT) | instid1(VALU_DEP_1)
	v_sub_nc_u32_e32 v8, v1, v6
	v_mul_lo_u32 v14, v8, s8
	s_delay_alu instid0(VALU_DEP_1) | instskip(NEXT) | instid1(VALU_DEP_1)
	v_sub_nc_u32_e32 v6, v12, v14
	v_dual_ashrrev_i32 v7, 31, v6 :: v_dual_ashrrev_i32 v9, 31, v8
	s_cbranch_vccnz .LBB30_5
; %bb.4:                                ;   in Loop: Header=BB30_3 Depth=1
	s_mov_b32 s19, 0
.LBB30_5:                               ;   in Loop: Header=BB30_3 Depth=1
	v_mov_b64_e32 v[10:11], 0
	s_and_not1_b32 vcc_lo, exec_lo, s19
	s_cbranch_vccnz .LBB30_26
; %bb.6:                                ;   in Loop: Header=BB30_3 Depth=1
	v_lshlrev_b64_e32 v[10:11], 2, v[12:13]
	v_mad_nc_u64_u32 v[12:13], s40, v8, s[34:35]
	v_ashrrev_i32_e32 v15, 31, v14
	s_mov_b32 s19, 0
	s_delay_alu instid0(VALU_DEP_3) | instskip(NEXT) | instid1(VALU_DEP_1)
	v_mad_nc_u64_u32 v[10:11], s44, v8, v[10:11]
	v_mad_u32 v1, s45, v8, v11
	s_delay_alu instid0(VALU_DEP_1) | instskip(SKIP_1) | instid1(VALU_DEP_1)
	v_mad_u32 v11, s44, v9, v1
	v_mad_u32 v1, s41, v8, v13
	;; [unrolled: 1-line block ×3, first 2 shown]
	v_add_nc_u32_e32 v1, s16, v4
	v_lshlrev_b64_e32 v[14:15], 2, v[14:15]
	s_delay_alu instid0(VALU_DEP_1) | instskip(NEXT) | instid1(VALU_DEP_1)
	v_sub_nc_u64_e32 v[10:11], v[10:11], v[14:15]
	v_add_nc_u64_e32 v[14:15], s[22:23], v[10:11]
	v_mov_b64_e32 v[10:11], 0
	s_branch .LBB30_8
.LBB30_7:                               ;   in Loop: Header=BB30_8 Depth=2
	v_add_nc_u64_e32 v[14:15], s[46:47], v[14:15]
	s_add_co_i32 s19, s19, 1
	s_delay_alu instid0(SALU_CYCLE_1)
	s_cmp_eq_u32 s19, s17
	s_cbranch_scc1 .LBB30_26
.LBB30_8:                               ;   Parent Loop BB30_3 Depth=1
                                        ; =>  This Loop Header: Depth=2
                                        ;       Child Loop BB30_17 Depth 3
                                        ;         Child Loop BB30_24 Depth 4
	s_mul_i32 s28, s13, s19
	s_mov_b32 s68, -1
	s_sub_co_i32 s66, s15, s28
	s_mov_b32 s67, 0
	s_cmp_gt_i32 s66, -1
                                        ; implicit-def: $sgpr52
                                        ; implicit-def: $sgpr53
                                        ; implicit-def: $sgpr28
                                        ; implicit-def: $sgpr65
	s_cbranch_scc1 .LBB30_12
; %bb.9:                                ;   in Loop: Header=BB30_8 Depth=2
	s_and_not1_b32 vcc_lo, exec_lo, s68
	s_cbranch_vccz .LBB30_13
.LBB30_10:                              ;   in Loop: Header=BB30_8 Depth=2
	s_and_not1_b32 vcc_lo, exec_lo, s67
	s_mov_b32 s66, 1
	s_cbranch_vccz .LBB30_14
; %bb.11:                               ;   in Loop: Header=BB30_8 Depth=2
	s_and_not1_b32 vcc_lo, exec_lo, s56
	s_cbranch_vccz .LBB30_15
	s_branch .LBB30_7
.LBB30_12:                              ;   in Loop: Header=BB30_8 Depth=2
	s_abs_i32 s28, s66
	s_delay_alu instid0(SALU_CYCLE_1) | instskip(NEXT) | instid1(SALU_CYCLE_1)
	s_mul_u64 s[52:53], s[28:29], s[10:11]
	s_mul_i32 s52, s53, s60
	s_delay_alu instid0(SALU_CYCLE_1) | instskip(SKIP_4) | instid1(SALU_CYCLE_1)
	s_sub_co_i32 s28, s28, s52
	s_ashr_i32 s52, s66, 31
	s_sub_co_i32 s65, s28, s60
	s_cmp_ge_u32 s28, s60
	s_cselect_b32 s67, s65, s28
	s_sub_co_i32 s68, s67, s60
	s_cmp_ge_u32 s67, s60
	s_cselect_b32 s67, s68, s67
	s_delay_alu instid0(SALU_CYCLE_1) | instskip(NEXT) | instid1(SALU_CYCLE_1)
	s_xor_b32 s67, s67, s52
	s_sub_co_i32 s67, s67, s52
	s_delay_alu instid0(SALU_CYCLE_1)
	s_cmp_lg_u32 s67, 0
	s_cselect_b32 s67, -1, 0
	s_cbranch_execnz .LBB30_10
.LBB30_13:                              ;   in Loop: Header=BB30_8 Depth=2
	s_abs_i32 s28, s66
	s_delay_alu instid0(SALU_CYCLE_1) | instskip(NEXT) | instid1(SALU_CYCLE_1)
	s_mul_u64 s[52:53], s[28:29], s[10:11]
	s_mul_i32 s52, s53, s60
	s_delay_alu instid0(SALU_CYCLE_1)
	s_sub_co_i32 s28, s28, s52
	s_ashr_i32 s52, s66, 31
	s_sub_co_i32 s65, s28, s60
	s_mov_b32 s66, 1
.LBB30_14:                              ;   in Loop: Header=BB30_8 Depth=2
	s_mov_b32 s66, 0
	s_and_not1_b32 vcc_lo, exec_lo, s56
	s_cbranch_vccnz .LBB30_7
.LBB30_15:                              ;   in Loop: Header=BB30_8 Depth=2
	s_xor_b32 s52, s52, s64
	s_add_co_i32 s67, s53, 1
	s_cmp_ge_u32 s28, s60
	v_mov_b64_e32 v[16:17], v[14:15]
	s_cselect_b32 s53, s67, s53
	s_cselect_b32 s28, s65, s28
	s_add_co_i32 s65, s53, 1
	s_cmp_ge_u32 s28, s60
	s_cselect_b32 s28, s65, s53
	s_mov_b32 s65, 0
	s_xor_b32 s28, s28, s52
	s_delay_alu instid0(SALU_CYCLE_1) | instskip(NEXT) | instid1(SALU_CYCLE_1)
	s_sub_co_i32 s52, s28, s52
	s_cmp_lt_i32 s52, s4
	s_cselect_b32 s28, s66, 0
	s_ashr_i32 s53, s52, 31
	s_delay_alu instid0(SALU_CYCLE_1)
	s_mul_u64 s[52:53], s[52:53], s[30:31]
	s_branch .LBB30_17
.LBB30_16:                              ;   in Loop: Header=BB30_17 Depth=3
	v_add_nc_u64_e32 v[16:17], s[48:49], v[16:17]
	s_add_co_i32 s65, s65, 1
	s_delay_alu instid0(SALU_CYCLE_1)
	s_cmp_eq_u32 s65, s18
	s_cbranch_scc1 .LBB30_7
.LBB30_17:                              ;   Parent Loop BB30_3 Depth=1
                                        ;     Parent Loop BB30_8 Depth=2
                                        ; =>    This Loop Header: Depth=3
                                        ;         Child Loop BB30_24 Depth 4
	s_mul_i32 s66, s14, s65
	s_delay_alu instid0(SALU_CYCLE_1) | instskip(NEXT) | instid1(VALU_DEP_1)
	v_subrev_nc_u32_e32 v2, s66, v1
	v_dual_sub_nc_u32 v18, 0, v2 :: v_dual_ashrrev_i32 v5, 31, v2
	v_cmp_gt_i32_e64 s66, 0, v2
	v_cmp_lt_i32_e32 vcc_lo, -1, v2
	s_delay_alu instid0(VALU_DEP_3)
	v_max_i32_e32 v2, v2, v18
	s_and_saveexec_b32 s67, vcc_lo
	s_cbranch_execnz .LBB30_20
; %bb.18:                               ;   in Loop: Header=BB30_17 Depth=3
	s_or_b32 exec_lo, exec_lo, s67
	v_mov_b32_e32 v20, 1
	s_and_saveexec_b32 s67, s66
	s_cbranch_execnz .LBB30_21
.LBB30_19:                              ;   in Loop: Header=BB30_17 Depth=3
	s_or_b32 exec_lo, exec_lo, s67
	s_delay_alu instid0(SALU_CYCLE_1)
	s_and_not1_b32 vcc_lo, exec_lo, s57
	s_cbranch_vccz .LBB30_22
	s_branch .LBB30_16
.LBB30_20:                              ;   in Loop: Header=BB30_17 Depth=3
	s_delay_alu instid0(VALU_DEP_1) | instskip(SKIP_1) | instid1(VALU_DEP_1)
	v_mul_u64_e32 v[18:19], s[38:39], v[2:3]
	s_and_not1_b32 s66, s66, exec_lo
	v_mul_lo_u32 v18, v19, s63
	s_delay_alu instid0(VALU_DEP_1) | instskip(NEXT) | instid1(VALU_DEP_1)
	v_sub_nc_u32_e32 v18, v2, v18
	v_subrev_nc_u32_e32 v19, s63, v18
	v_cmp_le_u32_e32 vcc_lo, s63, v18
	s_delay_alu instid0(VALU_DEP_2) | instskip(NEXT) | instid1(VALU_DEP_1)
	v_cndmask_b32_e32 v18, v18, v19, vcc_lo
	v_subrev_nc_u32_e32 v19, s63, v18
	v_cmp_le_u32_e32 vcc_lo, s63, v18
	s_delay_alu instid0(VALU_DEP_2) | instskip(NEXT) | instid1(VALU_DEP_1)
	v_cndmask_b32_e32 v18, v18, v19, vcc_lo
	v_xor_b32_e32 v18, v18, v5
	s_delay_alu instid0(VALU_DEP_1) | instskip(NEXT) | instid1(VALU_DEP_1)
	v_sub_nc_u32_e32 v18, v18, v5
	v_cmp_ne_u32_e32 vcc_lo, 0, v18
	s_and_b32 s68, vcc_lo, exec_lo
	s_delay_alu instid0(SALU_CYCLE_1)
	s_or_b32 s66, s66, s68
	s_or_b32 exec_lo, exec_lo, s67
	v_mov_b32_e32 v20, 1
	s_and_saveexec_b32 s67, s66
	s_cbranch_execz .LBB30_19
.LBB30_21:                              ;   in Loop: Header=BB30_17 Depth=3
	v_mov_b32_e32 v20, 0
	s_or_b32 exec_lo, exec_lo, s67
	s_delay_alu instid0(SALU_CYCLE_1)
	s_and_not1_b32 vcc_lo, exec_lo, s57
	s_cbranch_vccnz .LBB30_16
.LBB30_22:                              ;   in Loop: Header=BB30_17 Depth=3
	v_mul_u64_e32 v[18:19], s[38:39], v[2:3]
	s_mov_b32 s66, s7
	v_xor_b32_e32 v5, s12, v5
	s_delay_alu instid0(VALU_DEP_2) | instskip(NEXT) | instid1(VALU_DEP_1)
	v_mul_lo_u32 v18, v19, s63
	v_dual_sub_nc_u32 v2, v2, v18 :: v_dual_add_nc_u32 v18, 1, v19
	s_delay_alu instid0(VALU_DEP_1) | instskip(SKIP_1) | instid1(VALU_DEP_2)
	v_subrev_nc_u32_e32 v21, s63, v2
	v_cmp_le_u32_e32 vcc_lo, s63, v2
	v_dual_cndmask_b32 v18, v19, v18, vcc_lo :: v_dual_cndmask_b32 v2, v2, v21, vcc_lo
	s_delay_alu instid0(VALU_DEP_1) | instskip(NEXT) | instid1(VALU_DEP_2)
	v_add_nc_u32_e32 v19, 1, v18
	v_cmp_le_u32_e32 vcc_lo, s63, v2
	s_delay_alu instid0(VALU_DEP_2) | instskip(NEXT) | instid1(VALU_DEP_1)
	v_cndmask_b32_e32 v2, v18, v19, vcc_lo
	v_xor_b32_e32 v2, v2, v5
	s_delay_alu instid0(VALU_DEP_1) | instskip(NEXT) | instid1(VALU_DEP_1)
	v_sub_nc_u32_e32 v22, v2, v5
	v_cmp_gt_i32_e32 vcc_lo, s30, v22
	v_dual_cndmask_b32 v2, 0, v20 :: v_dual_ashrrev_i32 v23, 31, v22
	v_mov_b64_e32 v[20:21], v[16:17]
	s_delay_alu instid0(VALU_DEP_2) | instskip(NEXT) | instid1(VALU_DEP_3)
	v_and_b32_e32 v2, s28, v2
	v_add_nc_u64_e32 v[18:19], s[52:53], v[22:23]
	s_delay_alu instid0(VALU_DEP_2) | instskip(NEXT) | instid1(VALU_DEP_2)
	v_and_b32_e32 v2, 1, v2
	v_lshl_add_u64 v[24:25], v[18:19], 2, s[42:43]
	s_delay_alu instid0(VALU_DEP_2) | instskip(NEXT) | instid1(VALU_DEP_2)
	v_cmp_eq_u32_e32 vcc_lo, 1, v2
	v_mad_nc_u64_u32 v[18:19], s33, v24, v[12:13]
	s_delay_alu instid0(VALU_DEP_1) | instskip(NEXT) | instid1(VALU_DEP_1)
	v_mad_u32 v5, s54, v24, v19
	v_mad_u32 v19, s33, v25, v5
	s_branch .LBB30_24
.LBB30_23:                              ;   in Loop: Header=BB30_24 Depth=4
	s_wait_xcnt 0x0
	s_or_b32 exec_lo, exec_lo, s67
	s_delay_alu instid0(VALU_DEP_1) | instskip(SKIP_2) | instid1(SALU_CYCLE_1)
	v_add_nc_u64_e32 v[18:19], 4, v[18:19]
	v_add_nc_u64_e32 v[20:21], s[50:51], v[20:21]
	s_add_co_i32 s66, s66, -1
	s_cmp_eq_u32 s66, 0
	s_cbranch_scc1 .LBB30_16
.LBB30_24:                              ;   Parent Loop BB30_3 Depth=1
                                        ;     Parent Loop BB30_8 Depth=2
                                        ;       Parent Loop BB30_17 Depth=3
                                        ; =>      This Inner Loop Header: Depth=4
	s_and_saveexec_b32 s67, vcc_lo
	s_cbranch_execz .LBB30_23
; %bb.25:                               ;   in Loop: Header=BB30_24 Depth=4
	global_load_b32 v2, v[18:19], off
	global_load_b32 v5, v[20:21], off
	s_wait_loadcnt 0x1
	v_cvt_f64_f32_e32 v[22:23], v2
	s_wait_loadcnt 0x0
	v_cvt_f64_f32_e32 v[24:25], v5
	s_delay_alu instid0(VALU_DEP_1)
	v_fmac_f64_e32 v[10:11], v[22:23], v[24:25]
	s_branch .LBB30_23
.LBB30_26:                              ;   in Loop: Header=BB30_3 Depth=1
	v_ashrrev_i32_e32 v5, 31, v4
	v_mul_u64_e32 v[8:9], s[8:9], v[8:9]
	s_and_not1_b32 vcc_lo, exec_lo, s61
	s_delay_alu instid0(VALU_DEP_2) | instskip(NEXT) | instid1(VALU_DEP_1)
	v_mul_u64_e32 v[4:5], s[2:3], v[4:5]
	v_lshl_add_u64 v[4:5], v[4:5], 2, s[0:1]
	s_delay_alu instid0(VALU_DEP_1) | instskip(NEXT) | instid1(VALU_DEP_1)
	v_lshl_add_u64 v[4:5], v[8:9], 2, v[4:5]
	v_lshl_add_u64 v[4:5], v[6:7], 2, v[4:5]
	s_cbranch_vccnz .LBB30_2
; %bb.27:                               ;   in Loop: Header=BB30_3 Depth=1
	global_load_b32 v1, v[4:5], off
	s_wait_loadcnt 0x0
	v_cvt_f64_f32_e32 v[6:7], v1
	s_delay_alu instid0(VALU_DEP_1) | instskip(NEXT) | instid1(VALU_DEP_1)
	v_mul_f64_e32 v[6:7], s[26:27], v[6:7]
	v_fmac_f64_e32 v[6:7], s[24:25], v[10:11]
	s_delay_alu instid0(VALU_DEP_1)
	v_mov_b64_e32 v[10:11], v[6:7]
	s_branch .LBB30_2
.LBB30_28:
	s_endpgm
	.section	.rodata,"a",@progbits
	.p2align	6, 0x0
	.amdhsa_kernel naive_conv_ab_packed_bwd_nhwc_float_double_float
		.amdhsa_group_segment_fixed_size 0
		.amdhsa_private_segment_fixed_size 0
		.amdhsa_kernarg_size 480
		.amdhsa_user_sgpr_count 2
		.amdhsa_user_sgpr_dispatch_ptr 0
		.amdhsa_user_sgpr_queue_ptr 0
		.amdhsa_user_sgpr_kernarg_segment_ptr 1
		.amdhsa_user_sgpr_dispatch_id 0
		.amdhsa_user_sgpr_kernarg_preload_length 0
		.amdhsa_user_sgpr_kernarg_preload_offset 0
		.amdhsa_user_sgpr_private_segment_size 0
		.amdhsa_wavefront_size32 1
		.amdhsa_uses_dynamic_stack 0
		.amdhsa_enable_private_segment 0
		.amdhsa_system_sgpr_workgroup_id_x 1
		.amdhsa_system_sgpr_workgroup_id_y 0
		.amdhsa_system_sgpr_workgroup_id_z 0
		.amdhsa_system_sgpr_workgroup_info 0
		.amdhsa_system_vgpr_workitem_id 0
		.amdhsa_next_free_vgpr 26
		.amdhsa_next_free_sgpr 69
		.amdhsa_named_barrier_count 0
		.amdhsa_reserve_vcc 1
		.amdhsa_float_round_mode_32 0
		.amdhsa_float_round_mode_16_64 0
		.amdhsa_float_denorm_mode_32 3
		.amdhsa_float_denorm_mode_16_64 3
		.amdhsa_fp16_overflow 0
		.amdhsa_memory_ordered 1
		.amdhsa_forward_progress 1
		.amdhsa_inst_pref_size 17
		.amdhsa_round_robin_scheduling 0
		.amdhsa_exception_fp_ieee_invalid_op 0
		.amdhsa_exception_fp_denorm_src 0
		.amdhsa_exception_fp_ieee_div_zero 0
		.amdhsa_exception_fp_ieee_overflow 0
		.amdhsa_exception_fp_ieee_underflow 0
		.amdhsa_exception_fp_ieee_inexact 0
		.amdhsa_exception_int_div_zero 0
	.end_amdhsa_kernel
	.text
.Lfunc_end30:
	.size	naive_conv_ab_packed_bwd_nhwc_float_double_float, .Lfunc_end30-naive_conv_ab_packed_bwd_nhwc_float_double_float
                                        ; -- End function
	.set naive_conv_ab_packed_bwd_nhwc_float_double_float.num_vgpr, 26
	.set naive_conv_ab_packed_bwd_nhwc_float_double_float.num_agpr, 0
	.set naive_conv_ab_packed_bwd_nhwc_float_double_float.numbered_sgpr, 69
	.set naive_conv_ab_packed_bwd_nhwc_float_double_float.num_named_barrier, 0
	.set naive_conv_ab_packed_bwd_nhwc_float_double_float.private_seg_size, 0
	.set naive_conv_ab_packed_bwd_nhwc_float_double_float.uses_vcc, 1
	.set naive_conv_ab_packed_bwd_nhwc_float_double_float.uses_flat_scratch, 0
	.set naive_conv_ab_packed_bwd_nhwc_float_double_float.has_dyn_sized_stack, 0
	.set naive_conv_ab_packed_bwd_nhwc_float_double_float.has_recursion, 0
	.set naive_conv_ab_packed_bwd_nhwc_float_double_float.has_indirect_call, 0
	.section	.AMDGPU.csdata,"",@progbits
; Kernel info:
; codeLenInByte = 2088
; TotalNumSgprs: 71
; NumVgprs: 26
; ScratchSize: 0
; MemoryBound: 0
; FloatMode: 240
; IeeeMode: 1
; LDSByteSize: 0 bytes/workgroup (compile time only)
; SGPRBlocks: 0
; VGPRBlocks: 1
; NumSGPRsForWavesPerEU: 71
; NumVGPRsForWavesPerEU: 26
; NamedBarCnt: 0
; Occupancy: 16
; WaveLimiterHint : 0
; COMPUTE_PGM_RSRC2:SCRATCH_EN: 0
; COMPUTE_PGM_RSRC2:USER_SGPR: 2
; COMPUTE_PGM_RSRC2:TRAP_HANDLER: 0
; COMPUTE_PGM_RSRC2:TGID_X_EN: 1
; COMPUTE_PGM_RSRC2:TGID_Y_EN: 0
; COMPUTE_PGM_RSRC2:TGID_Z_EN: 0
; COMPUTE_PGM_RSRC2:TIDIG_COMP_CNT: 0
	.text
	.protected	naive_conv_ab_nonpacked_bwd_nhwc_float_double_float ; -- Begin function naive_conv_ab_nonpacked_bwd_nhwc_float_double_float
	.globl	naive_conv_ab_nonpacked_bwd_nhwc_float_double_float
	.p2align	8
	.type	naive_conv_ab_nonpacked_bwd_nhwc_float_double_float,@function
naive_conv_ab_nonpacked_bwd_nhwc_float_double_float: ; @naive_conv_ab_nonpacked_bwd_nhwc_float_double_float
; %bb.0:
	s_load_b512 s[4:19], s[0:1], 0xa0
	s_bfe_u32 s2, ttmp6, 0x4000c
	s_and_b32 s3, ttmp6, 15
	s_add_co_i32 s2, s2, 1
	s_getreg_b32 s20, hwreg(HW_REG_IB_STS2, 6, 4)
	s_mul_i32 s2, ttmp9, s2
	s_delay_alu instid0(SALU_CYCLE_1) | instskip(SKIP_2) | instid1(SALU_CYCLE_1)
	s_add_co_i32 s3, s3, s2
	s_cmp_eq_u32 s20, 0
	s_cselect_b32 s28, ttmp9, s3
	s_abs_i32 s21, s28
	s_wait_kmcnt 0x0
	s_abs_i32 s2, s4
	s_delay_alu instid0(SALU_CYCLE_1) | instskip(SKIP_1) | instid1(SALU_CYCLE_2)
	s_cvt_f32_u32 s3, s2
	s_sub_co_i32 s20, 0, s2
	v_rcp_iflag_f32_e32 v1, s3
	v_nop
	s_delay_alu instid0(TRANS32_DEP_1) | instskip(SKIP_1) | instid1(SALU_CYCLE_3)
	v_readfirstlane_b32 s3, v1
	s_mul_f32 s3, s3, 0x4f7ffffe
	s_cvt_u32_f32 s3, s3
	s_delay_alu instid0(SALU_CYCLE_3) | instskip(NEXT) | instid1(SALU_CYCLE_1)
	s_mul_i32 s20, s20, s3
	s_mul_hi_u32 s20, s3, s20
	s_delay_alu instid0(SALU_CYCLE_1) | instskip(NEXT) | instid1(SALU_CYCLE_1)
	s_add_co_i32 s3, s3, s20
	s_mul_hi_u32 s3, s21, s3
	s_delay_alu instid0(SALU_CYCLE_1) | instskip(NEXT) | instid1(SALU_CYCLE_1)
	s_mul_i32 s20, s3, s2
	s_sub_co_i32 s20, s21, s20
	s_add_co_i32 s21, s3, 1
	s_sub_co_i32 s22, s20, s2
	s_cmp_ge_u32 s20, s2
	s_cselect_b32 s3, s21, s3
	s_cselect_b32 s20, s22, s20
	s_add_co_i32 s21, s3, 1
	s_cmp_ge_u32 s20, s2
	s_mov_b32 s20, exec_lo
	s_cselect_b32 s2, s21, s3
	s_abs_i32 s29, s6
	s_mul_i32 s6, s19, s8
	s_cvt_f32_u32 s3, s29
	s_mul_i32 s19, s6, s5
	s_delay_alu instid0(SALU_CYCLE_2) | instskip(SKIP_2) | instid1(TRANS32_DEP_1)
	v_rcp_iflag_f32_e32 v1, s3
	s_mov_b32 s3, 0
	v_nop
	v_readfirstlane_b32 s5, v1
	v_cmpx_gt_i32_e64 s19, v0
	s_cbranch_execz .LBB31_28
; %bb.1:
	s_mul_f32 s5, s5, 0x4f7ffffe
	s_xor_b32 s30, s28, s4
	s_sub_co_i32 s33, 0, s29
	s_ashr_i32 s30, s30, 31
	s_cvt_u32_f32 s5, s5
	s_xor_b32 s2, s2, s30
	s_mov_b32 s31, s3
	s_sub_co_i32 s34, s2, s30
	s_mul_i32 s33, s33, s5
	s_abs_i32 s2, s34
	s_mul_hi_u32 s30, s5, s33
	s_load_b256 s[20:27], s[0:1], 0x0
	s_add_co_i32 s30, s5, s30
	s_load_b512 s[36:51], s[0:1], 0x28
	s_mul_u64 s[30:31], s[2:3], s[30:31]
	s_ashr_i32 s5, s34, 31
	s_mul_i32 s30, s31, s29
	s_mul_i32 s34, s34, s4
	s_sub_co_i32 s2, s2, s30
	s_sub_co_i32 s4, s28, s34
	;; [unrolled: 1-line block ×3, first 2 shown]
	s_cmp_ge_u32 s2, s29
	s_load_b32 s66, s[0:1], 0xec
	s_cselect_b32 s2, s28, s2
	s_load_b64 s[72:73], s[0:1], 0x20
	s_sub_co_i32 s28, s2, s29
	s_cmp_ge_u32 s2, s29
	s_load_b256 s[52:59], s[0:1], 0x68
	s_cselect_b32 s2, s28, s2
	v_mov_b32_e32 v3, 0
	s_xor_b32 s2, s2, s5
	s_wait_kmcnt 0x0
	v_cmp_neq_f64_e64 s70, s[24:25], 1.0
	s_sub_co_i32 s60, s2, s5
	s_ashr_i32 s5, s4, 31
	s_ashr_i32 s61, s60, 31
	s_mul_u64 s[28:29], s[42:43], s[4:5]
	s_mul_u64 s[30:31], s[44:45], s[60:61]
	v_cmp_neq_f64_e64 s2, s[26:27], 0
	s_lshl_b64 s[34:35], s[28:29], 2
	s_lshl_b64 s[42:43], s[30:31], 2
	s_cmp_lt_i32 s17, 1
	s_clause 0x1
	s_load_b64 s[74:75], s[0:1], 0x98
	s_load_b128 s[28:31], s[0:1], 0x88
	s_cselect_b32 s33, -1, 0
	s_add_co_i32 s15, s4, s15
	s_cmp_gt_i32 s18, 0
	s_add_nc_u64 s[4:5], s[20:21], s[42:43]
	s_cselect_b32 s62, -1, 0
	s_cmp_gt_i32 s7, 0
	s_wait_xcnt 0x0
	s_add_nc_u64 s[0:1], s[4:5], s[34:35]
	s_cselect_b32 s63, -1, 0
	s_abs_i32 s65, s8
	s_abs_i32 s64, s6
	s_cvt_f32_u32 s20, s65
	s_cvt_f32_u32 s44, s64
	s_abs_i32 s68, s11
	s_abs_i32 s69, s12
	v_rcp_iflag_f32_e32 v2, s20
	v_rcp_iflag_f32_e32 v1, s44
	s_cvt_f32_u32 s20, s68
	s_cvt_f32_u32 s35, s69
	s_sub_co_i32 s34, 0, s65
	s_sub_co_i32 s5, 0, s64
	s_lshl_b64 s[44:45], s[46:47], 2
	v_readfirstlane_b32 s21, v2
	v_readfirstlane_b32 s4, v1
	v_rcp_iflag_f32_e32 v1, s20
	v_rcp_iflag_f32_e32 v2, s35
	s_lshl_b64 s[46:47], s[54:55], 2
	s_mul_f32 s20, s21, 0x4f7ffffe
	s_or_b32 s70, s70, s2
	s_mul_f32 s4, s4, 0x4f7ffffe
	s_wait_kmcnt 0x0
	s_mul_u64 s[54:55], s[74:75], s[60:61]
	s_cvt_u32_f32 s2, s20
	v_readfirstlane_b32 s20, v1
	v_readfirstlane_b32 s35, v2
	s_cvt_u32_f32 s4, s4
	s_mul_i32 s34, s34, s2
	s_lshl_b64 s[54:55], s[54:55], 2
	s_mul_hi_u32 s21, s2, s34
	s_mul_f32 s34, s20, 0x4f7ffffe
	s_add_co_i32 s20, s2, s21
	s_mul_i32 s5, s5, s4
	s_and_b32 s66, s66, 0xffff
	s_cvt_u32_f32 s2, s34
	s_mul_f32 s34, s35, 0x4f7ffffe
	s_sub_co_i32 s35, 0, s68
	s_mul_hi_u32 s5, s4, s5
	s_mul_i32 s35, s35, s2
	s_cvt_u32_f32 s42, s34
	s_mul_hi_u32 s34, s2, s35
	s_sub_co_i32 s35, 0, s69
	s_add_co_i32 s34, s2, s34
	s_mul_i32 s2, s35, s42
	s_ashr_i32 s67, s6, 31
	s_mul_hi_u32 s2, s42, s2
	s_add_co_i32 s4, s4, s5
	s_mov_b32 s5, s3
	s_ashr_i32 s71, s8, 31
	s_mov_b32 s21, s3
	s_ashr_i32 s11, s11, 31
	;; [unrolled: 2-line block ×3, first 2 shown]
	s_add_co_i32 s42, s42, s2
	s_mov_b32 s43, s3
	s_lshl_b64 s[50:51], s[50:51], 2
	s_lshl_b64 s[48:49], s[48:49], 2
	;; [unrolled: 1-line block ×3, first 2 shown]
	s_add_nc_u64 s[54:55], s[72:73], s[54:55]
	s_lshl_b64 s[58:59], s[58:59], 2
	s_lshl_b64 s[30:31], s[30:31], 2
	;; [unrolled: 1-line block ×4, first 2 shown]
	s_mov_b32 s72, 0
	s_branch .LBB31_3
.LBB31_2:                               ;   in Loop: Header=BB31_3 Depth=1
	s_delay_alu instid0(VALU_DEP_1) | instskip(SKIP_1) | instid1(VALU_DEP_1)
	v_cvt_f32_f64_e32 v1, v[10:11]
	v_add_nc_u32_e32 v0, s66, v0
	v_cmp_le_i32_e32 vcc_lo, s19, v0
	s_or_b32 s72, vcc_lo, s72
	global_store_b32 v[4:5], v1, off
	s_wait_xcnt 0x0
	s_and_not1_b32 exec_lo, exec_lo, s72
	s_cbranch_execz .LBB31_28
.LBB31_3:                               ; =>This Loop Header: Depth=1
                                        ;     Child Loop BB31_8 Depth 2
                                        ;       Child Loop BB31_17 Depth 3
                                        ;         Child Loop BB31_24 Depth 4
	v_sub_nc_u32_e32 v1, 0, v0
	s_mov_b32 s2, -1
	s_delay_alu instid0(VALU_DEP_1) | instskip(NEXT) | instid1(VALU_DEP_1)
	v_max_i32_e32 v2, v0, v1
	v_mul_u64_e32 v[4:5], s[4:5], v[2:3]
	s_delay_alu instid0(VALU_DEP_1) | instskip(NEXT) | instid1(VALU_DEP_1)
	v_mul_lo_u32 v1, v5, s64
	v_sub_nc_u32_e32 v1, v2, v1
	v_add_nc_u32_e32 v2, 1, v5
	s_delay_alu instid0(VALU_DEP_2) | instskip(NEXT) | instid1(VALU_DEP_2)
	v_cmp_le_u32_e32 vcc_lo, s64, v1
	v_cndmask_b32_e32 v2, v5, v2, vcc_lo
	v_subrev_nc_u32_e32 v4, s64, v1
	v_ashrrev_i32_e32 v5, 31, v0
	s_delay_alu instid0(VALU_DEP_2) | instskip(NEXT) | instid1(VALU_DEP_1)
	v_dual_cndmask_b32 v1, v1, v4 :: v_dual_add_nc_u32 v4, 1, v2
	v_cmp_le_u32_e32 vcc_lo, s64, v1
	s_delay_alu instid0(VALU_DEP_2) | instskip(NEXT) | instid1(VALU_DEP_1)
	v_dual_cndmask_b32 v1, v2, v4, vcc_lo :: v_dual_bitop2_b32 v5, s67, v5 bitop3:0x14
	v_xor_b32_e32 v1, v1, v5
	s_delay_alu instid0(VALU_DEP_1) | instskip(NEXT) | instid1(VALU_DEP_1)
	v_sub_nc_u32_e32 v4, v1, v5
	v_mul_lo_u32 v1, v4, s6
	s_delay_alu instid0(VALU_DEP_1) | instskip(NEXT) | instid1(VALU_DEP_1)
	v_sub_nc_u32_e32 v12, v0, v1
	v_sub_nc_u32_e32 v1, 0, v12
	s_delay_alu instid0(VALU_DEP_1) | instskip(NEXT) | instid1(VALU_DEP_1)
	v_max_i32_e32 v2, v12, v1
	v_mul_u64_e32 v[6:7], s[20:21], v[2:3]
	s_delay_alu instid0(VALU_DEP_1) | instskip(NEXT) | instid1(VALU_DEP_1)
	v_mul_lo_u32 v1, v7, s65
	v_dual_sub_nc_u32 v1, v2, v1 :: v_dual_add_nc_u32 v2, 1, v7
	v_ashrrev_i32_e32 v13, 31, v12
	s_delay_alu instid0(VALU_DEP_2) | instskip(SKIP_1) | instid1(VALU_DEP_3)
	v_subrev_nc_u32_e32 v5, s65, v1
	v_cmp_le_u32_e32 vcc_lo, s65, v1
	v_dual_cndmask_b32 v2, v7, v2, vcc_lo :: v_dual_bitop2_b32 v6, s71, v13 bitop3:0x14
	s_delay_alu instid0(VALU_DEP_1) | instskip(NEXT) | instid1(VALU_DEP_1)
	v_dual_cndmask_b32 v1, v1, v5, vcc_lo :: v_dual_add_nc_u32 v5, 1, v2
	v_cmp_le_u32_e32 vcc_lo, s65, v1
	s_delay_alu instid0(VALU_DEP_2) | instskip(SKIP_1) | instid1(VALU_DEP_1)
	v_cndmask_b32_e32 v1, v2, v5, vcc_lo
	s_and_not1_b32 vcc_lo, exec_lo, s33
	v_xor_b32_e32 v1, v1, v6
	s_delay_alu instid0(VALU_DEP_1) | instskip(NEXT) | instid1(VALU_DEP_1)
	v_sub_nc_u32_e32 v6, v1, v6
	v_mul_lo_u32 v14, v6, s8
	s_delay_alu instid0(VALU_DEP_1) | instskip(NEXT) | instid1(VALU_DEP_1)
	v_sub_nc_u32_e32 v8, v12, v14
	v_dual_ashrrev_i32 v9, 31, v8 :: v_dual_ashrrev_i32 v7, 31, v6
	s_cbranch_vccnz .LBB31_5
; %bb.4:                                ;   in Loop: Header=BB31_3 Depth=1
	s_mov_b32 s2, 0
.LBB31_5:                               ;   in Loop: Header=BB31_3 Depth=1
	v_mov_b64_e32 v[10:11], 0
	s_and_not1_b32 vcc_lo, exec_lo, s2
	s_cbranch_vccnz .LBB31_26
; %bb.6:                                ;   in Loop: Header=BB31_3 Depth=1
	v_mul_u64_e32 v[10:11], s[46:47], v[6:7]
	v_ashrrev_i32_e32 v15, 31, v14
	s_mov_b32 s73, 0
	s_delay_alu instid0(VALU_DEP_1) | instskip(SKIP_1) | instid1(VALU_DEP_1)
	v_sub_nc_u64_e32 v[14:15], v[12:13], v[14:15]
	v_mad_nc_u64_u32 v[12:13], s58, v6, s[54:55]
	v_mad_u32 v2, s59, v6, v13
	s_delay_alu instid0(VALU_DEP_1) | instskip(NEXT) | instid1(VALU_DEP_4)
	v_mad_u32 v13, s58, v7, v2
	v_mad_nc_u64_u32 v[10:11], s44, v14, v[10:11]
	s_delay_alu instid0(VALU_DEP_1) | instskip(NEXT) | instid1(VALU_DEP_1)
	v_mad_u32 v1, s45, v14, v11
	v_mad_u32 v11, s44, v15, v1
	v_add_nc_u32_e32 v1, s16, v4
	s_delay_alu instid0(VALU_DEP_2)
	v_add_nc_u64_e32 v[14:15], s[22:23], v[10:11]
	v_mov_b64_e32 v[10:11], 0
	s_branch .LBB31_8
.LBB31_7:                               ;   in Loop: Header=BB31_8 Depth=2
	v_add_nc_u64_e32 v[14:15], s[50:51], v[14:15]
	s_add_co_i32 s73, s73, 1
	s_delay_alu instid0(SALU_CYCLE_1)
	s_cmp_eq_u32 s73, s17
	s_cbranch_scc1 .LBB31_26
.LBB31_8:                               ;   Parent Loop BB31_3 Depth=1
                                        ; =>  This Loop Header: Depth=2
                                        ;       Child Loop BB31_17 Depth 3
                                        ;         Child Loop BB31_24 Depth 4
	s_mul_i32 s2, s13, s73
	s_mov_b32 s77, -1
	s_sub_co_i32 s75, s15, s2
	s_mov_b32 s76, 0
	s_cmp_gt_i32 s75, -1
                                        ; implicit-def: $sgpr60
                                        ; implicit-def: $sgpr61
                                        ; implicit-def: $sgpr2
                                        ; implicit-def: $sgpr74
	s_cbranch_scc1 .LBB31_12
; %bb.9:                                ;   in Loop: Header=BB31_8 Depth=2
	s_and_not1_b32 vcc_lo, exec_lo, s77
	s_cbranch_vccz .LBB31_13
.LBB31_10:                              ;   in Loop: Header=BB31_8 Depth=2
	s_and_not1_b32 vcc_lo, exec_lo, s76
	s_mov_b32 s75, 1
	s_cbranch_vccz .LBB31_14
; %bb.11:                               ;   in Loop: Header=BB31_8 Depth=2
	s_and_not1_b32 vcc_lo, exec_lo, s62
	s_cbranch_vccz .LBB31_15
	s_branch .LBB31_7
.LBB31_12:                              ;   in Loop: Header=BB31_8 Depth=2
	s_abs_i32 s2, s75
	s_delay_alu instid0(SALU_CYCLE_1) | instskip(NEXT) | instid1(SALU_CYCLE_1)
	s_mul_u64 s[60:61], s[2:3], s[34:35]
	s_mul_i32 s60, s61, s68
	s_delay_alu instid0(SALU_CYCLE_1) | instskip(SKIP_4) | instid1(SALU_CYCLE_1)
	s_sub_co_i32 s2, s2, s60
	s_ashr_i32 s60, s75, 31
	s_sub_co_i32 s74, s2, s68
	s_cmp_ge_u32 s2, s68
	s_cselect_b32 s76, s74, s2
	s_sub_co_i32 s77, s76, s68
	s_cmp_ge_u32 s76, s68
	s_cselect_b32 s76, s77, s76
	s_delay_alu instid0(SALU_CYCLE_1) | instskip(NEXT) | instid1(SALU_CYCLE_1)
	s_xor_b32 s76, s76, s60
	s_sub_co_i32 s76, s76, s60
	s_delay_alu instid0(SALU_CYCLE_1)
	s_cmp_lg_u32 s76, 0
	s_cselect_b32 s76, -1, 0
	s_cbranch_execnz .LBB31_10
.LBB31_13:                              ;   in Loop: Header=BB31_8 Depth=2
	s_abs_i32 s2, s75
	s_delay_alu instid0(SALU_CYCLE_1) | instskip(NEXT) | instid1(SALU_CYCLE_1)
	s_mul_u64 s[60:61], s[2:3], s[34:35]
	s_mul_i32 s60, s61, s68
	s_delay_alu instid0(SALU_CYCLE_1)
	s_sub_co_i32 s2, s2, s60
	s_ashr_i32 s60, s75, 31
	s_sub_co_i32 s74, s2, s68
	s_mov_b32 s75, 1
.LBB31_14:                              ;   in Loop: Header=BB31_8 Depth=2
	s_mov_b32 s75, 0
	s_and_not1_b32 vcc_lo, exec_lo, s62
	s_cbranch_vccnz .LBB31_7
.LBB31_15:                              ;   in Loop: Header=BB31_8 Depth=2
	s_xor_b32 s60, s60, s11
	s_add_co_i32 s76, s61, 1
	s_cmp_ge_u32 s2, s68
	v_mov_b64_e32 v[18:19], v[14:15]
	s_cselect_b32 s61, s76, s61
	s_cselect_b32 s2, s74, s2
	s_add_co_i32 s74, s61, 1
	s_cmp_ge_u32 s2, s68
	s_cselect_b32 s2, s74, s61
	s_delay_alu instid0(SALU_CYCLE_1) | instskip(NEXT) | instid1(SALU_CYCLE_1)
	s_xor_b32 s2, s2, s60
	s_sub_co_i32 s60, s2, s60
	s_delay_alu instid0(SALU_CYCLE_1)
	v_mad_nc_u64_u32 v[16:17], s30, s60, v[12:13]
	s_cmp_lt_i32 s60, s9
	s_cselect_b32 s2, s75, 0
	s_ashr_i32 s61, s60, 31
	s_mul_i32 s60, s31, s60
	s_mul_i32 s61, s30, s61
	s_delay_alu instid0(VALU_DEP_1) | instid1(SALU_CYCLE_1)
	v_add3_u32 v17, s61, s60, v17
	s_mov_b32 s60, 0
	s_branch .LBB31_17
.LBB31_16:                              ;   in Loop: Header=BB31_17 Depth=3
	v_add_nc_u64_e32 v[18:19], s[48:49], v[18:19]
	s_add_co_i32 s60, s60, 1
	s_delay_alu instid0(SALU_CYCLE_1)
	s_cmp_eq_u32 s60, s18
	s_cbranch_scc1 .LBB31_7
.LBB31_17:                              ;   Parent Loop BB31_3 Depth=1
                                        ;     Parent Loop BB31_8 Depth=2
                                        ; =>    This Loop Header: Depth=3
                                        ;         Child Loop BB31_24 Depth 4
	s_mul_i32 s61, s14, s60
	s_delay_alu instid0(SALU_CYCLE_1) | instskip(NEXT) | instid1(VALU_DEP_1)
	v_subrev_nc_u32_e32 v2, s61, v1
	v_dual_sub_nc_u32 v20, 0, v2 :: v_dual_ashrrev_i32 v5, 31, v2
	v_cmp_gt_i32_e64 s61, 0, v2
	v_cmp_lt_i32_e32 vcc_lo, -1, v2
	s_delay_alu instid0(VALU_DEP_3)
	v_max_i32_e32 v2, v2, v20
	s_and_saveexec_b32 s74, vcc_lo
	s_cbranch_execnz .LBB31_20
; %bb.18:                               ;   in Loop: Header=BB31_17 Depth=3
	s_or_b32 exec_lo, exec_lo, s74
	v_mov_b32_e32 v22, 1
	s_and_saveexec_b32 s74, s61
	s_cbranch_execnz .LBB31_21
.LBB31_19:                              ;   in Loop: Header=BB31_17 Depth=3
	s_or_b32 exec_lo, exec_lo, s74
	s_delay_alu instid0(SALU_CYCLE_1)
	s_and_not1_b32 vcc_lo, exec_lo, s63
	s_cbranch_vccz .LBB31_22
	s_branch .LBB31_16
.LBB31_20:                              ;   in Loop: Header=BB31_17 Depth=3
	s_delay_alu instid0(VALU_DEP_1) | instskip(SKIP_1) | instid1(VALU_DEP_1)
	v_mul_u64_e32 v[20:21], s[42:43], v[2:3]
	s_and_not1_b32 s61, s61, exec_lo
	v_mul_lo_u32 v20, v21, s69
	s_delay_alu instid0(VALU_DEP_1) | instskip(NEXT) | instid1(VALU_DEP_1)
	v_sub_nc_u32_e32 v20, v2, v20
	v_subrev_nc_u32_e32 v21, s69, v20
	v_cmp_le_u32_e32 vcc_lo, s69, v20
	s_delay_alu instid0(VALU_DEP_2) | instskip(NEXT) | instid1(VALU_DEP_1)
	v_cndmask_b32_e32 v20, v20, v21, vcc_lo
	v_subrev_nc_u32_e32 v21, s69, v20
	v_cmp_le_u32_e32 vcc_lo, s69, v20
	s_delay_alu instid0(VALU_DEP_2) | instskip(NEXT) | instid1(VALU_DEP_1)
	v_cndmask_b32_e32 v20, v20, v21, vcc_lo
	v_xor_b32_e32 v20, v20, v5
	s_delay_alu instid0(VALU_DEP_1) | instskip(NEXT) | instid1(VALU_DEP_1)
	v_sub_nc_u32_e32 v20, v20, v5
	v_cmp_ne_u32_e32 vcc_lo, 0, v20
	s_and_b32 s75, vcc_lo, exec_lo
	s_delay_alu instid0(SALU_CYCLE_1)
	s_or_b32 s61, s61, s75
	s_or_b32 exec_lo, exec_lo, s74
	v_mov_b32_e32 v22, 1
	s_and_saveexec_b32 s74, s61
	s_cbranch_execz .LBB31_19
.LBB31_21:                              ;   in Loop: Header=BB31_17 Depth=3
	v_mov_b32_e32 v22, 0
	s_or_b32 exec_lo, exec_lo, s74
	s_delay_alu instid0(SALU_CYCLE_1)
	s_and_not1_b32 vcc_lo, exec_lo, s63
	s_cbranch_vccnz .LBB31_16
.LBB31_22:                              ;   in Loop: Header=BB31_17 Depth=3
	v_mul_u64_e32 v[20:21], s[42:43], v[2:3]
	s_mov_b32 s61, s7
	v_xor_b32_e32 v5, s12, v5
	s_delay_alu instid0(VALU_DEP_2) | instskip(NEXT) | instid1(VALU_DEP_1)
	v_mul_lo_u32 v20, v21, s69
	v_dual_sub_nc_u32 v2, v2, v20 :: v_dual_add_nc_u32 v20, 1, v21
	s_delay_alu instid0(VALU_DEP_1) | instskip(SKIP_1) | instid1(VALU_DEP_2)
	v_subrev_nc_u32_e32 v23, s69, v2
	v_cmp_le_u32_e32 vcc_lo, s69, v2
	v_dual_cndmask_b32 v20, v21, v20, vcc_lo :: v_dual_cndmask_b32 v2, v2, v23, vcc_lo
	s_delay_alu instid0(VALU_DEP_1) | instskip(NEXT) | instid1(VALU_DEP_2)
	v_add_nc_u32_e32 v21, 1, v20
	v_cmp_le_u32_e32 vcc_lo, s69, v2
	s_delay_alu instid0(VALU_DEP_2) | instskip(NEXT) | instid1(VALU_DEP_1)
	v_cndmask_b32_e32 v2, v20, v21, vcc_lo
	v_xor_b32_e32 v2, v2, v5
	s_delay_alu instid0(VALU_DEP_1) | instskip(NEXT) | instid1(VALU_DEP_1)
	v_sub_nc_u32_e32 v2, v2, v5
	v_cmp_gt_i32_e32 vcc_lo, s10, v2
	v_cndmask_b32_e32 v5, 0, v22, vcc_lo
	v_mov_b64_e32 v[22:23], v[18:19]
	s_delay_alu instid0(VALU_DEP_2) | instskip(SKIP_1) | instid1(VALU_DEP_2)
	v_and_b32_e32 v5, s2, v5
	v_mad_nc_u64_u32 v[20:21], s28, v2, v[16:17]
	v_and_b32_e32 v5, 1, v5
	s_delay_alu instid0(VALU_DEP_1) | instskip(NEXT) | instid1(VALU_DEP_3)
	v_cmp_eq_u32_e32 vcc_lo, 1, v5
	v_mad_u32 v21, s29, v2, v21
	v_ashrrev_i32_e32 v2, 31, v2
	s_delay_alu instid0(VALU_DEP_1)
	v_mad_u32 v21, s28, v2, v21
	s_branch .LBB31_24
.LBB31_23:                              ;   in Loop: Header=BB31_24 Depth=4
	s_wait_xcnt 0x0
	s_or_b32 exec_lo, exec_lo, s74
	v_add_nc_u64_e32 v[22:23], s[52:53], v[22:23]
	s_delay_alu instid0(VALU_DEP_2) | instskip(SKIP_1) | instid1(SALU_CYCLE_1)
	v_add_nc_u64_e32 v[20:21], s[56:57], v[20:21]
	s_add_co_i32 s61, s61, -1
	s_cmp_eq_u32 s61, 0
	s_cbranch_scc1 .LBB31_16
.LBB31_24:                              ;   Parent Loop BB31_3 Depth=1
                                        ;     Parent Loop BB31_8 Depth=2
                                        ;       Parent Loop BB31_17 Depth=3
                                        ; =>      This Inner Loop Header: Depth=4
	s_and_saveexec_b32 s74, vcc_lo
	s_cbranch_execz .LBB31_23
; %bb.25:                               ;   in Loop: Header=BB31_24 Depth=4
	global_load_b32 v2, v[20:21], off
	global_load_b32 v5, v[22:23], off
	s_wait_loadcnt 0x1
	v_cvt_f64_f32_e32 v[24:25], v2
	s_wait_loadcnt 0x0
	v_cvt_f64_f32_e32 v[26:27], v5
	s_delay_alu instid0(VALU_DEP_1)
	v_fmac_f64_e32 v[10:11], v[24:25], v[26:27]
	s_branch .LBB31_23
.LBB31_26:                              ;   in Loop: Header=BB31_3 Depth=1
	v_ashrrev_i32_e32 v5, 31, v4
	v_mul_u64_e32 v[6:7], s[38:39], v[6:7]
	v_mul_u64_e32 v[8:9], s[36:37], v[8:9]
	s_and_not1_b32 vcc_lo, exec_lo, s70
	s_delay_alu instid0(VALU_DEP_3) | instskip(NEXT) | instid1(VALU_DEP_1)
	v_mul_u64_e32 v[4:5], s[40:41], v[4:5]
	v_lshl_add_u64 v[4:5], v[4:5], 2, s[0:1]
	s_delay_alu instid0(VALU_DEP_1) | instskip(NEXT) | instid1(VALU_DEP_1)
	v_lshl_add_u64 v[4:5], v[6:7], 2, v[4:5]
	v_lshl_add_u64 v[4:5], v[8:9], 2, v[4:5]
	s_cbranch_vccnz .LBB31_2
; %bb.27:                               ;   in Loop: Header=BB31_3 Depth=1
	global_load_b32 v1, v[4:5], off
	s_wait_loadcnt 0x0
	v_cvt_f64_f32_e32 v[6:7], v1
	s_delay_alu instid0(VALU_DEP_1) | instskip(NEXT) | instid1(VALU_DEP_1)
	v_mul_f64_e32 v[6:7], s[26:27], v[6:7]
	v_fmac_f64_e32 v[6:7], s[24:25], v[10:11]
	s_delay_alu instid0(VALU_DEP_1)
	v_mov_b64_e32 v[10:11], v[6:7]
	s_branch .LBB31_2
.LBB31_28:
	s_endpgm
	.section	.rodata,"a",@progbits
	.p2align	6, 0x0
	.amdhsa_kernel naive_conv_ab_nonpacked_bwd_nhwc_float_double_float
		.amdhsa_group_segment_fixed_size 0
		.amdhsa_private_segment_fixed_size 0
		.amdhsa_kernarg_size 480
		.amdhsa_user_sgpr_count 2
		.amdhsa_user_sgpr_dispatch_ptr 0
		.amdhsa_user_sgpr_queue_ptr 0
		.amdhsa_user_sgpr_kernarg_segment_ptr 1
		.amdhsa_user_sgpr_dispatch_id 0
		.amdhsa_user_sgpr_kernarg_preload_length 0
		.amdhsa_user_sgpr_kernarg_preload_offset 0
		.amdhsa_user_sgpr_private_segment_size 0
		.amdhsa_wavefront_size32 1
		.amdhsa_uses_dynamic_stack 0
		.amdhsa_enable_private_segment 0
		.amdhsa_system_sgpr_workgroup_id_x 1
		.amdhsa_system_sgpr_workgroup_id_y 0
		.amdhsa_system_sgpr_workgroup_id_z 0
		.amdhsa_system_sgpr_workgroup_info 0
		.amdhsa_system_vgpr_workitem_id 0
		.amdhsa_next_free_vgpr 28
		.amdhsa_next_free_sgpr 78
		.amdhsa_named_barrier_count 0
		.amdhsa_reserve_vcc 1
		.amdhsa_float_round_mode_32 0
		.amdhsa_float_round_mode_16_64 0
		.amdhsa_float_denorm_mode_32 3
		.amdhsa_float_denorm_mode_16_64 3
		.amdhsa_fp16_overflow 0
		.amdhsa_memory_ordered 1
		.amdhsa_forward_progress 1
		.amdhsa_inst_pref_size 17
		.amdhsa_round_robin_scheduling 0
		.amdhsa_exception_fp_ieee_invalid_op 0
		.amdhsa_exception_fp_denorm_src 0
		.amdhsa_exception_fp_ieee_div_zero 0
		.amdhsa_exception_fp_ieee_overflow 0
		.amdhsa_exception_fp_ieee_underflow 0
		.amdhsa_exception_fp_ieee_inexact 0
		.amdhsa_exception_int_div_zero 0
	.end_amdhsa_kernel
	.text
.Lfunc_end31:
	.size	naive_conv_ab_nonpacked_bwd_nhwc_float_double_float, .Lfunc_end31-naive_conv_ab_nonpacked_bwd_nhwc_float_double_float
                                        ; -- End function
	.set naive_conv_ab_nonpacked_bwd_nhwc_float_double_float.num_vgpr, 28
	.set naive_conv_ab_nonpacked_bwd_nhwc_float_double_float.num_agpr, 0
	.set naive_conv_ab_nonpacked_bwd_nhwc_float_double_float.numbered_sgpr, 78
	.set naive_conv_ab_nonpacked_bwd_nhwc_float_double_float.num_named_barrier, 0
	.set naive_conv_ab_nonpacked_bwd_nhwc_float_double_float.private_seg_size, 0
	.set naive_conv_ab_nonpacked_bwd_nhwc_float_double_float.uses_vcc, 1
	.set naive_conv_ab_nonpacked_bwd_nhwc_float_double_float.uses_flat_scratch, 0
	.set naive_conv_ab_nonpacked_bwd_nhwc_float_double_float.has_dyn_sized_stack, 0
	.set naive_conv_ab_nonpacked_bwd_nhwc_float_double_float.has_recursion, 0
	.set naive_conv_ab_nonpacked_bwd_nhwc_float_double_float.has_indirect_call, 0
	.section	.AMDGPU.csdata,"",@progbits
; Kernel info:
; codeLenInByte = 2068
; TotalNumSgprs: 80
; NumVgprs: 28
; ScratchSize: 0
; MemoryBound: 0
; FloatMode: 240
; IeeeMode: 1
; LDSByteSize: 0 bytes/workgroup (compile time only)
; SGPRBlocks: 0
; VGPRBlocks: 1
; NumSGPRsForWavesPerEU: 80
; NumVGPRsForWavesPerEU: 28
; NamedBarCnt: 0
; Occupancy: 16
; WaveLimiterHint : 0
; COMPUTE_PGM_RSRC2:SCRATCH_EN: 0
; COMPUTE_PGM_RSRC2:USER_SGPR: 2
; COMPUTE_PGM_RSRC2:TRAP_HANDLER: 0
; COMPUTE_PGM_RSRC2:TGID_X_EN: 1
; COMPUTE_PGM_RSRC2:TGID_Y_EN: 0
; COMPUTE_PGM_RSRC2:TGID_Z_EN: 0
; COMPUTE_PGM_RSRC2:TIDIG_COMP_CNT: 0
	.text
	.protected	naive_conv_ab_packed_bwd_nhwc_half_double_half ; -- Begin function naive_conv_ab_packed_bwd_nhwc_half_double_half
	.globl	naive_conv_ab_packed_bwd_nhwc_half_double_half
	.p2align	8
	.type	naive_conv_ab_packed_bwd_nhwc_half_double_half,@function
naive_conv_ab_packed_bwd_nhwc_half_double_half: ; @naive_conv_ab_packed_bwd_nhwc_half_double_half
; %bb.0:
	s_load_b512 s[4:19], s[0:1], 0xa0
	s_bfe_u32 s2, ttmp6, 0x4000c
	s_and_b32 s3, ttmp6, 15
	s_add_co_i32 s2, s2, 1
	s_getreg_b32 s20, hwreg(HW_REG_IB_STS2, 6, 4)
	s_mul_i32 s2, ttmp9, s2
	s_mov_b32 s29, 0
	s_add_co_i32 s3, s3, s2
	s_cmp_eq_u32 s20, 0
	s_cselect_b32 s3, ttmp9, s3
	s_delay_alu instid0(SALU_CYCLE_1) | instskip(SKIP_2) | instid1(SALU_CYCLE_1)
	s_abs_i32 s22, s3
	s_wait_kmcnt 0x0
	s_abs_i32 s2, s4
	s_cvt_f32_u32 s20, s2
	s_sub_co_i32 s21, 0, s2
	s_delay_alu instid0(SALU_CYCLE_2) | instskip(SKIP_1) | instid1(TRANS32_DEP_1)
	v_rcp_iflag_f32_e32 v1, s20
	v_nop
	v_readfirstlane_b32 s20, v1
	s_mul_f32 s20, s20, 0x4f7ffffe
	s_delay_alu instid0(SALU_CYCLE_3) | instskip(NEXT) | instid1(SALU_CYCLE_3)
	s_cvt_u32_f32 s20, s20
	s_mul_i32 s21, s21, s20
	s_delay_alu instid0(SALU_CYCLE_1) | instskip(NEXT) | instid1(SALU_CYCLE_1)
	s_mul_hi_u32 s21, s20, s21
	s_add_co_i32 s20, s20, s21
	s_delay_alu instid0(SALU_CYCLE_1) | instskip(NEXT) | instid1(SALU_CYCLE_1)
	s_mul_hi_u32 s20, s22, s20
	s_mul_i32 s21, s20, s2
	s_delay_alu instid0(SALU_CYCLE_1)
	s_sub_co_i32 s21, s22, s21
	s_add_co_i32 s22, s20, 1
	s_sub_co_i32 s23, s21, s2
	s_cmp_ge_u32 s21, s2
	s_cselect_b32 s20, s22, s20
	s_cselect_b32 s21, s23, s21
	s_add_co_i32 s22, s20, 1
	s_cmp_ge_u32 s21, s2
	s_cselect_b32 s20, s22, s20
	s_abs_i32 s30, s6
	s_mov_b32 s22, exec_lo
	s_cvt_f32_u32 s2, s30
	s_delay_alu instid0(SALU_CYCLE_3) | instskip(SKIP_1) | instid1(SALU_CYCLE_1)
	v_rcp_iflag_f32_e32 v1, s2
	s_mul_i32 s2, s19, s8
	s_mul_i32 s6, s2, s5
	v_nop
	s_delay_alu instid0(TRANS32_DEP_1)
	v_readfirstlane_b32 s21, v1
	v_cmpx_gt_i32_e64 s6, v0
	s_cbranch_execz .LBB32_30
; %bb.1:
	s_mul_f32 s21, s21, 0x4f7ffffe
	s_xor_b32 s22, s3, s4
	s_sub_co_i32 s23, 0, s30
	s_ashr_i32 s22, s22, 31
	s_cvt_u32_f32 s21, s21
	s_xor_b32 s20, s20, s22
	s_mov_b32 s35, s29
	s_sub_co_i32 s31, s20, s22
	s_mul_i32 s23, s23, s21
	s_abs_i32 s28, s31
	s_mul_hi_u32 s20, s21, s23
	s_ashr_i32 s38, s31, 31
	s_add_co_i32 s34, s21, s20
	s_mul_i32 s31, s31, s4
	s_mul_u64 s[34:35], s[28:29], s[34:35]
	s_load_b256 s[20:27], s[0:1], 0x0
	s_mul_i32 s33, s35, s30
	s_sub_co_i32 s34, s3, s31
	s_sub_co_i32 s28, s28, s33
	s_mul_i32 s33, s19, s7
	s_sub_co_i32 s3, s28, s30
	s_cmp_ge_u32 s28, s30
	s_mov_b32 s36, s4
	s_cselect_b32 s3, s3, s28
	s_mov_b32 s46, s17
	s_sub_co_i32 s19, s3, s30
	s_cmp_ge_u32 s3, s30
	s_mov_b32 s30, s5
	s_cselect_b32 s3, s19, s3
	s_ashr_i32 s37, s4, 31
	s_xor_b32 s4, s3, s38
	s_ashr_i32 s31, s5, 31
	s_sub_co_i32 s42, s4, s38
	s_ashr_i32 s3, s2, 31
	s_ashr_i32 s43, s42, 31
	;; [unrolled: 1-line block ×3, first 2 shown]
	s_mul_u64 s[36:37], s[42:43], s[36:37]
	s_mul_u64 s[38:39], s[2:3], s[30:31]
	s_add_nc_u64 s[36:37], s[36:37], s[34:35]
	s_wait_kmcnt 0x0
	v_cmp_neq_f64_e64 s28, s[24:25], 1.0
	s_mul_u64 s[36:37], s[38:39], s[36:37]
	v_cmp_neq_f64_e64 s38, s[26:27], 0
	s_ashr_i32 s5, s9, 31
	s_ashr_i32 s31, s10, 31
	;; [unrolled: 1-line block ×3, first 2 shown]
	s_lshl_b64 s[36:37], s[36:37], 1
	s_cmp_lt_i32 s17, 1
	s_mov_b32 s30, s10
	s_cselect_b32 s55, -1, 0
	s_add_co_i32 s15, s34, s15
	s_cmp_gt_i32 s18, 0
	s_clause 0x1
	s_load_b64 s[34:35], s[0:1], 0x20
	s_load_b32 s39, s[0:1], 0xec
	s_cselect_b32 s56, -1, 0
	s_cmp_gt_i32 s7, 0
	s_wait_xcnt 0x0
	s_add_nc_u64 s[0:1], s[20:21], s[36:37]
	s_cselect_b32 s57, -1, 0
	s_abs_i32 s58, s2
	s_abs_i32 s59, s8
	s_cvt_f32_u32 s4, s58
	s_abs_i32 s60, s11
	s_abs_i32 s63, s12
	s_cvt_f32_u32 s21, s60
	v_rcp_iflag_f32_e32 v1, s4
	s_mov_b32 s4, s9
	s_cvt_f32_u32 s9, s59
	s_ashr_i32 s19, s18, 31
	s_ashr_i32 s47, s17, 31
	;; [unrolled: 1-line block ×3, first 2 shown]
	v_rcp_iflag_f32_e32 v2, s9
	v_readfirstlane_b32 s10, v1
	v_rcp_iflag_f32_e32 v1, s21
	s_sub_co_i32 s21, 0, s58
	s_ashr_i32 s9, s8, 31
	s_or_b32 s61, s28, s38
	s_cvt_f32_u32 s28, s63
	v_readfirstlane_b32 s20, v2
	s_mul_f32 s10, s10, 0x4f7ffffe
	s_mul_u64 s[48:49], s[18:19], s[8:9]
	v_rcp_iflag_f32_e32 v2, s28
	v_nop
	v_readfirstlane_b32 s28, v1
	s_mul_f32 s20, s20, 0x4f7ffffe
	s_cvt_u32_f32 s10, s10
	s_ashr_i32 s45, s7, 31
	s_mov_b32 s44, s7
	s_cvt_u32_f32 s36, s20
	s_mul_i32 s21, s21, s10
	s_sub_co_i32 s20, 0, s59
	v_readfirstlane_b32 s38, v2
	s_mul_hi_u32 s21, s10, s21
	s_mul_i32 s37, s20, s36
	s_mul_f32 s28, s28, 0x4f7ffffe
	s_add_co_i32 s20, s10, s21
	s_mul_hi_u32 s10, s36, s37
	s_mul_u64 s[50:51], s[30:31], s[4:5]
	s_add_co_i32 s36, s36, s10
	s_cvt_u32_f32 s10, s28
	s_mul_f32 s28, s38, 0x4f7ffffe
	s_sub_co_i32 s38, 0, s60
	s_mul_u64 s[52:53], s[48:49], s[46:47]
	s_mul_i32 s38, s38, s10
	s_cvt_u32_f32 s28, s28
	s_mul_hi_u32 s11, s10, s38
	s_sub_co_i32 s38, 0, s63
	v_dual_mov_b32 v3, 0 :: v_dual_mov_b32 v20, 0x7e00
	s_mul_i32 s38, s38, s28
	s_lshl_b64 s[40:41], s[44:45], 1
	s_mul_hi_u32 s38, s28, s38
	s_mul_u64 s[42:43], s[50:51], s[42:43]
	s_mul_u64 s[44:45], s[52:53], s[44:45]
	s_wait_kmcnt 0x0
	s_and_b32 s62, s39, 0xffff
	s_mov_b32 s21, s29
	s_mov_b32 s37, s29
	s_add_co_i32 s10, s10, s11
	s_mov_b32 s11, s29
	s_ashr_i32 s12, s12, 31
	s_add_co_i32 s38, s28, s38
	s_mov_b32 s39, s29
	s_lshl_b64 s[42:43], s[42:43], 1
	s_lshl_b64 s[44:45], s[44:45], 1
	;; [unrolled: 1-line block ×5, first 2 shown]
	s_mov_b32 s5, 0
	s_branch .LBB32_3
.LBB32_2:                               ;   in Loop: Header=BB32_3 Depth=1
	v_add_nc_u32_e32 v0, s62, v0
	s_delay_alu instid0(VALU_DEP_1)
	v_cmp_le_i32_e32 vcc_lo, s6, v0
	s_or_b32 s5, vcc_lo, s5
	s_wait_xcnt 0x0
	s_and_not1_b32 exec_lo, exec_lo, s5
	s_cbranch_execz .LBB32_30
.LBB32_3:                               ; =>This Loop Header: Depth=1
                                        ;     Child Loop BB32_8 Depth 2
                                        ;       Child Loop BB32_17 Depth 3
                                        ;         Child Loop BB32_24 Depth 4
	v_sub_nc_u32_e32 v1, 0, v0
	s_mov_b32 s19, -1
	s_delay_alu instid0(VALU_DEP_1) | instskip(NEXT) | instid1(VALU_DEP_1)
	v_max_i32_e32 v2, v0, v1
	v_mul_u64_e32 v[4:5], s[20:21], v[2:3]
	s_delay_alu instid0(VALU_DEP_1) | instskip(NEXT) | instid1(VALU_DEP_1)
	v_mul_lo_u32 v1, v5, s58
	v_sub_nc_u32_e32 v1, v2, v1
	v_add_nc_u32_e32 v2, 1, v5
	s_delay_alu instid0(VALU_DEP_2) | instskip(NEXT) | instid1(VALU_DEP_2)
	v_cmp_le_u32_e32 vcc_lo, s58, v1
	v_cndmask_b32_e32 v2, v5, v2, vcc_lo
	v_subrev_nc_u32_e32 v4, s58, v1
	v_ashrrev_i32_e32 v5, 31, v0
	s_delay_alu instid0(VALU_DEP_2) | instskip(NEXT) | instid1(VALU_DEP_1)
	v_dual_cndmask_b32 v1, v1, v4 :: v_dual_add_nc_u32 v4, 1, v2
	v_cmp_le_u32_e32 vcc_lo, s58, v1
	s_delay_alu instid0(VALU_DEP_2) | instskip(NEXT) | instid1(VALU_DEP_1)
	v_dual_cndmask_b32 v1, v2, v4, vcc_lo :: v_dual_bitop2_b32 v5, s3, v5 bitop3:0x14
	v_xor_b32_e32 v1, v1, v5
	s_delay_alu instid0(VALU_DEP_1) | instskip(NEXT) | instid1(VALU_DEP_1)
	v_sub_nc_u32_e32 v7, v1, v5
	v_mul_lo_u32 v1, v7, s2
	s_delay_alu instid0(VALU_DEP_1) | instskip(NEXT) | instid1(VALU_DEP_1)
	v_sub_nc_u32_e32 v10, v0, v1
	v_sub_nc_u32_e32 v1, 0, v10
	s_delay_alu instid0(VALU_DEP_1) | instskip(NEXT) | instid1(VALU_DEP_1)
	v_max_i32_e32 v2, v10, v1
	v_mul_u64_e32 v[4:5], s[36:37], v[2:3]
	s_delay_alu instid0(VALU_DEP_1) | instskip(NEXT) | instid1(VALU_DEP_1)
	v_mul_lo_u32 v1, v5, s59
	v_sub_nc_u32_e32 v1, v2, v1
	v_dual_add_nc_u32 v2, 1, v5 :: v_dual_ashrrev_i32 v11, 31, v10
	s_delay_alu instid0(VALU_DEP_2) | instskip(SKIP_1) | instid1(VALU_DEP_3)
	v_subrev_nc_u32_e32 v4, s59, v1
	v_cmp_le_u32_e32 vcc_lo, s59, v1
	v_dual_cndmask_b32 v2, v5, v2, vcc_lo :: v_dual_bitop2_b32 v5, s9, v11 bitop3:0x14
	s_delay_alu instid0(VALU_DEP_1) | instskip(NEXT) | instid1(VALU_DEP_1)
	v_dual_cndmask_b32 v1, v1, v4 :: v_dual_add_nc_u32 v4, 1, v2
	v_cmp_le_u32_e32 vcc_lo, s59, v1
	s_delay_alu instid0(VALU_DEP_2) | instskip(SKIP_1) | instid1(VALU_DEP_1)
	v_cndmask_b32_e32 v1, v2, v4, vcc_lo
	s_and_not1_b32 vcc_lo, exec_lo, s55
	v_xor_b32_e32 v1, v1, v5
	s_delay_alu instid0(VALU_DEP_1) | instskip(NEXT) | instid1(VALU_DEP_1)
	v_sub_nc_u32_e32 v6, v1, v5
	v_mul_lo_u32 v12, v6, s8
	s_delay_alu instid0(VALU_DEP_1) | instskip(NEXT) | instid1(VALU_DEP_1)
	v_sub_nc_u32_e32 v8, v10, v12
	v_dual_ashrrev_i32 v9, 31, v8 :: v_dual_ashrrev_i32 v1, 31, v6
	s_cbranch_vccnz .LBB32_5
; %bb.4:                                ;   in Loop: Header=BB32_3 Depth=1
	s_mov_b32 s19, 0
.LBB32_5:                               ;   in Loop: Header=BB32_3 Depth=1
	v_mov_b64_e32 v[4:5], 0
	s_and_not1_b32 vcc_lo, exec_lo, s19
	s_cbranch_vccnz .LBB32_26
; %bb.6:                                ;   in Loop: Header=BB32_3 Depth=1
	v_lshlrev_b64_e32 v[4:5], 1, v[10:11]
	v_mad_nc_u64_u32 v[10:11], s40, v6, s[34:35]
	v_dual_ashrrev_i32 v13, 31, v12 :: v_dual_add_nc_u32 v21, s16, v7
	s_mov_b32 s19, 0
	s_delay_alu instid0(VALU_DEP_1) | instskip(NEXT) | instid1(VALU_DEP_4)
	v_lshlrev_b64_e32 v[12:13], 1, v[12:13]
	v_mad_nc_u64_u32 v[4:5], s44, v6, v[4:5]
	s_delay_alu instid0(VALU_DEP_1) | instskip(NEXT) | instid1(VALU_DEP_1)
	v_mad_u32 v2, s45, v6, v5
	v_mad_u32 v5, s44, v1, v2
	;; [unrolled: 1-line block ×3, first 2 shown]
	s_delay_alu instid0(VALU_DEP_2) | instskip(NEXT) | instid1(VALU_DEP_2)
	v_sub_nc_u64_e32 v[4:5], v[4:5], v[12:13]
	v_mad_u32 v11, s40, v1, v2
	s_delay_alu instid0(VALU_DEP_2)
	v_add_nc_u64_e32 v[12:13], s[22:23], v[4:5]
	v_mov_b64_e32 v[4:5], 0
	s_branch .LBB32_8
.LBB32_7:                               ;   in Loop: Header=BB32_8 Depth=2
	v_add_nc_u64_e32 v[12:13], s[46:47], v[12:13]
	s_add_co_i32 s19, s19, 1
	s_delay_alu instid0(SALU_CYCLE_1)
	s_cmp_eq_u32 s19, s17
	s_cbranch_scc1 .LBB32_26
.LBB32_8:                               ;   Parent Loop BB32_3 Depth=1
                                        ; =>  This Loop Header: Depth=2
                                        ;       Child Loop BB32_17 Depth 3
                                        ;         Child Loop BB32_24 Depth 4
	s_mul_i32 s28, s13, s19
	s_mov_b32 s68, -1
	s_sub_co_i32 s66, s15, s28
	s_mov_b32 s67, 0
	s_cmp_gt_i32 s66, -1
                                        ; implicit-def: $sgpr52
                                        ; implicit-def: $sgpr53
                                        ; implicit-def: $sgpr28
                                        ; implicit-def: $sgpr65
	s_cbranch_scc1 .LBB32_12
; %bb.9:                                ;   in Loop: Header=BB32_8 Depth=2
	s_and_not1_b32 vcc_lo, exec_lo, s68
	s_cbranch_vccz .LBB32_13
.LBB32_10:                              ;   in Loop: Header=BB32_8 Depth=2
	s_and_not1_b32 vcc_lo, exec_lo, s67
	s_mov_b32 s66, 1
	s_cbranch_vccz .LBB32_14
; %bb.11:                               ;   in Loop: Header=BB32_8 Depth=2
	s_and_not1_b32 vcc_lo, exec_lo, s56
	s_cbranch_vccz .LBB32_15
	s_branch .LBB32_7
.LBB32_12:                              ;   in Loop: Header=BB32_8 Depth=2
	s_abs_i32 s28, s66
	s_delay_alu instid0(SALU_CYCLE_1) | instskip(NEXT) | instid1(SALU_CYCLE_1)
	s_mul_u64 s[52:53], s[28:29], s[10:11]
	s_mul_i32 s52, s53, s60
	s_delay_alu instid0(SALU_CYCLE_1) | instskip(SKIP_4) | instid1(SALU_CYCLE_1)
	s_sub_co_i32 s28, s28, s52
	s_ashr_i32 s52, s66, 31
	s_sub_co_i32 s65, s28, s60
	s_cmp_ge_u32 s28, s60
	s_cselect_b32 s67, s65, s28
	s_sub_co_i32 s68, s67, s60
	s_cmp_ge_u32 s67, s60
	s_cselect_b32 s67, s68, s67
	s_delay_alu instid0(SALU_CYCLE_1) | instskip(NEXT) | instid1(SALU_CYCLE_1)
	s_xor_b32 s67, s67, s52
	s_sub_co_i32 s67, s67, s52
	s_delay_alu instid0(SALU_CYCLE_1)
	s_cmp_lg_u32 s67, 0
	s_cselect_b32 s67, -1, 0
	s_cbranch_execnz .LBB32_10
.LBB32_13:                              ;   in Loop: Header=BB32_8 Depth=2
	s_abs_i32 s28, s66
	s_delay_alu instid0(SALU_CYCLE_1) | instskip(NEXT) | instid1(SALU_CYCLE_1)
	s_mul_u64 s[52:53], s[28:29], s[10:11]
	s_mul_i32 s52, s53, s60
	s_delay_alu instid0(SALU_CYCLE_1)
	s_sub_co_i32 s28, s28, s52
	s_ashr_i32 s52, s66, 31
	s_sub_co_i32 s65, s28, s60
	s_mov_b32 s66, 1
.LBB32_14:                              ;   in Loop: Header=BB32_8 Depth=2
	s_mov_b32 s66, 0
	s_and_not1_b32 vcc_lo, exec_lo, s56
	s_cbranch_vccnz .LBB32_7
.LBB32_15:                              ;   in Loop: Header=BB32_8 Depth=2
	s_xor_b32 s52, s52, s64
	s_add_co_i32 s67, s53, 1
	s_cmp_ge_u32 s28, s60
	v_mov_b64_e32 v[14:15], v[12:13]
	s_cselect_b32 s53, s67, s53
	s_cselect_b32 s28, s65, s28
	s_add_co_i32 s65, s53, 1
	s_cmp_ge_u32 s28, s60
	s_cselect_b32 s28, s65, s53
	s_mov_b32 s65, 0
	s_xor_b32 s28, s28, s52
	s_delay_alu instid0(SALU_CYCLE_1) | instskip(NEXT) | instid1(SALU_CYCLE_1)
	s_sub_co_i32 s52, s28, s52
	s_cmp_lt_i32 s52, s4
	s_cselect_b32 s28, s66, 0
	s_ashr_i32 s53, s52, 31
	s_delay_alu instid0(SALU_CYCLE_1)
	s_mul_u64 s[52:53], s[52:53], s[30:31]
	s_branch .LBB32_17
.LBB32_16:                              ;   in Loop: Header=BB32_17 Depth=3
	v_add_nc_u64_e32 v[14:15], s[48:49], v[14:15]
	s_add_co_i32 s65, s65, 1
	s_delay_alu instid0(SALU_CYCLE_1)
	s_cmp_eq_u32 s65, s18
	s_cbranch_scc1 .LBB32_7
.LBB32_17:                              ;   Parent Loop BB32_3 Depth=1
                                        ;     Parent Loop BB32_8 Depth=2
                                        ; =>    This Loop Header: Depth=3
                                        ;         Child Loop BB32_24 Depth 4
	s_mul_i32 s66, s14, s65
	s_delay_alu instid0(SALU_CYCLE_1) | instskip(NEXT) | instid1(VALU_DEP_1)
	v_subrev_nc_u32_e32 v2, s66, v21
	v_dual_sub_nc_u32 v17, 0, v2 :: v_dual_ashrrev_i32 v16, 31, v2
	v_cmp_gt_i32_e64 s66, 0, v2
	v_cmp_lt_i32_e32 vcc_lo, -1, v2
	s_delay_alu instid0(VALU_DEP_3)
	v_max_i32_e32 v2, v2, v17
	s_and_saveexec_b32 s67, vcc_lo
	s_cbranch_execnz .LBB32_20
; %bb.18:                               ;   in Loop: Header=BB32_17 Depth=3
	s_or_b32 exec_lo, exec_lo, s67
	v_mov_b32_e32 v18, 1
	s_and_saveexec_b32 s67, s66
	s_cbranch_execnz .LBB32_21
.LBB32_19:                              ;   in Loop: Header=BB32_17 Depth=3
	s_or_b32 exec_lo, exec_lo, s67
	s_delay_alu instid0(SALU_CYCLE_1)
	s_and_not1_b32 vcc_lo, exec_lo, s57
	s_cbranch_vccz .LBB32_22
	s_branch .LBB32_16
.LBB32_20:                              ;   in Loop: Header=BB32_17 Depth=3
	s_delay_alu instid0(VALU_DEP_1) | instskip(SKIP_1) | instid1(VALU_DEP_1)
	v_mul_u64_e32 v[18:19], s[38:39], v[2:3]
	s_and_not1_b32 s66, s66, exec_lo
	v_mul_lo_u32 v17, v19, s63
	s_delay_alu instid0(VALU_DEP_1) | instskip(NEXT) | instid1(VALU_DEP_1)
	v_sub_nc_u32_e32 v17, v2, v17
	v_subrev_nc_u32_e32 v18, s63, v17
	v_cmp_le_u32_e32 vcc_lo, s63, v17
	s_delay_alu instid0(VALU_DEP_2) | instskip(NEXT) | instid1(VALU_DEP_1)
	v_cndmask_b32_e32 v17, v17, v18, vcc_lo
	v_subrev_nc_u32_e32 v18, s63, v17
	v_cmp_le_u32_e32 vcc_lo, s63, v17
	s_delay_alu instid0(VALU_DEP_2) | instskip(NEXT) | instid1(VALU_DEP_1)
	v_cndmask_b32_e32 v17, v17, v18, vcc_lo
	v_xor_b32_e32 v17, v17, v16
	s_delay_alu instid0(VALU_DEP_1) | instskip(NEXT) | instid1(VALU_DEP_1)
	v_sub_nc_u32_e32 v17, v17, v16
	v_cmp_ne_u32_e32 vcc_lo, 0, v17
	s_and_b32 s68, vcc_lo, exec_lo
	s_delay_alu instid0(SALU_CYCLE_1)
	s_or_b32 s66, s66, s68
	s_or_b32 exec_lo, exec_lo, s67
	v_mov_b32_e32 v18, 1
	s_and_saveexec_b32 s67, s66
	s_cbranch_execz .LBB32_19
.LBB32_21:                              ;   in Loop: Header=BB32_17 Depth=3
	v_mov_b32_e32 v18, 0
	s_or_b32 exec_lo, exec_lo, s67
	s_delay_alu instid0(SALU_CYCLE_1)
	s_and_not1_b32 vcc_lo, exec_lo, s57
	s_cbranch_vccnz .LBB32_16
.LBB32_22:                              ;   in Loop: Header=BB32_17 Depth=3
	v_mul_u64_e32 v[22:23], s[38:39], v[2:3]
	s_mov_b32 s66, s7
	v_xor_b32_e32 v16, s12, v16
	s_delay_alu instid0(VALU_DEP_2) | instskip(NEXT) | instid1(VALU_DEP_1)
	v_mul_lo_u32 v17, v23, s63
	v_dual_sub_nc_u32 v2, v2, v17 :: v_dual_add_nc_u32 v17, 1, v23
	s_delay_alu instid0(VALU_DEP_1) | instskip(SKIP_1) | instid1(VALU_DEP_2)
	v_subrev_nc_u32_e32 v19, s63, v2
	v_cmp_le_u32_e32 vcc_lo, s63, v2
	v_dual_cndmask_b32 v17, v23, v17 :: v_dual_cndmask_b32 v2, v2, v19
	s_delay_alu instid0(VALU_DEP_1) | instskip(NEXT) | instid1(VALU_DEP_2)
	v_add_nc_u32_e32 v19, 1, v17
	v_cmp_le_u32_e32 vcc_lo, s63, v2
	s_delay_alu instid0(VALU_DEP_2) | instskip(NEXT) | instid1(VALU_DEP_1)
	v_cndmask_b32_e32 v2, v17, v19, vcc_lo
	v_xor_b32_e32 v2, v2, v16
	s_delay_alu instid0(VALU_DEP_1) | instskip(NEXT) | instid1(VALU_DEP_1)
	v_sub_nc_u32_e32 v22, v2, v16
	v_cmp_gt_i32_e32 vcc_lo, s30, v22
	v_cndmask_b32_e32 v2, 0, v18, vcc_lo
	v_ashrrev_i32_e32 v23, 31, v22
	v_mov_b64_e32 v[18:19], v[14:15]
	s_delay_alu instid0(VALU_DEP_3) | instskip(NEXT) | instid1(VALU_DEP_3)
	v_and_b32_e32 v2, s28, v2
	v_add_nc_u64_e32 v[16:17], s[52:53], v[22:23]
	s_delay_alu instid0(VALU_DEP_2) | instskip(NEXT) | instid1(VALU_DEP_2)
	v_and_b32_e32 v2, 1, v2
	v_lshl_add_u64 v[24:25], v[16:17], 1, s[42:43]
	s_delay_alu instid0(VALU_DEP_2) | instskip(NEXT) | instid1(VALU_DEP_2)
	v_cmp_eq_u32_e32 vcc_lo, 1, v2
	v_mad_nc_u64_u32 v[16:17], s33, v24, v[10:11]
	s_delay_alu instid0(VALU_DEP_1) | instskip(NEXT) | instid1(VALU_DEP_1)
	v_mad_u32 v17, s54, v24, v17
	v_mad_u32 v17, s33, v25, v17
	s_branch .LBB32_24
.LBB32_23:                              ;   in Loop: Header=BB32_24 Depth=4
	s_wait_xcnt 0x0
	s_or_b32 exec_lo, exec_lo, s67
	s_delay_alu instid0(VALU_DEP_1) | instskip(SKIP_2) | instid1(SALU_CYCLE_1)
	v_add_nc_u64_e32 v[16:17], 2, v[16:17]
	v_add_nc_u64_e32 v[18:19], s[50:51], v[18:19]
	s_add_co_i32 s66, s66, -1
	s_cmp_eq_u32 s66, 0
	s_cbranch_scc1 .LBB32_16
.LBB32_24:                              ;   Parent Loop BB32_3 Depth=1
                                        ;     Parent Loop BB32_8 Depth=2
                                        ;       Parent Loop BB32_17 Depth=3
                                        ; =>      This Inner Loop Header: Depth=4
	s_and_saveexec_b32 s67, vcc_lo
	s_cbranch_execz .LBB32_23
; %bb.25:                               ;   in Loop: Header=BB32_24 Depth=4
	global_load_u16 v2, v[16:17], off
	global_load_u16 v22, v[18:19], off
	s_wait_loadcnt 0x1
	v_cvt_f32_f16_e32 v2, v2
	s_wait_loadcnt 0x0
	v_cvt_f32_f16_e32 v24, v22
	s_delay_alu instid0(VALU_DEP_2) | instskip(NEXT) | instid1(VALU_DEP_2)
	v_cvt_f64_f32_e32 v[22:23], v2
	v_cvt_f64_f32_e32 v[24:25], v24
	s_delay_alu instid0(VALU_DEP_1)
	v_fmac_f64_e32 v[4:5], v[22:23], v[24:25]
	s_branch .LBB32_23
.LBB32_26:                              ;   in Loop: Header=BB32_3 Depth=1
	v_mad_nc_i64_i32 v[8:9], v7, s2, v[8:9]
	s_and_b32 vcc_lo, exec_lo, s61
	s_mov_b32 s19, -1
	s_delay_alu instid0(VALU_DEP_1) | instskip(NEXT) | instid1(VALU_DEP_1)
	v_mad_nc_u64_u32 v[8:9], v6, s8, v[8:9]
	v_mad_u32 v1, v1, s8, v9
	s_delay_alu instid0(VALU_DEP_1) | instskip(NEXT) | instid1(VALU_DEP_1)
	v_mad_u32 v9, v6, s9, v1
	v_lshl_add_u64 v[6:7], v[8:9], 1, s[0:1]
	s_cbranch_vccz .LBB32_28
; %bb.27:                               ;   in Loop: Header=BB32_3 Depth=1
	global_load_u16 v1, v[6:7], off
	s_mov_b32 s19, 0
	s_wait_loadcnt 0x0
	v_cvt_f32_f16_e32 v1, v1
	s_delay_alu instid0(VALU_DEP_1) | instskip(NEXT) | instid1(VALU_DEP_1)
	v_cvt_f64_f32_e32 v[8:9], v1
	v_mul_f64_e32 v[8:9], s[26:27], v[8:9]
	s_delay_alu instid0(VALU_DEP_1) | instskip(NEXT) | instid1(VALU_DEP_1)
	v_fmac_f64_e32 v[8:9], s[24:25], v[4:5]
	v_and_or_b32 v1, 0x1ff, v9, v8
	v_lshrrev_b32_e32 v2, 8, v9
	v_bfe_u32 v8, v9, 20, 11
	s_delay_alu instid0(VALU_DEP_3) | instskip(NEXT) | instid1(VALU_DEP_2)
	v_cmp_ne_u32_e32 vcc_lo, 0, v1
	v_sub_nc_u32_e32 v10, 0x3f1, v8
	v_add_nc_u32_e32 v8, 0xfffffc10, v8
	v_cndmask_b32_e64 v1, 0, 1, vcc_lo
	s_delay_alu instid0(VALU_DEP_1) | instskip(NEXT) | instid1(VALU_DEP_4)
	v_and_or_b32 v1, 0xffe, v2, v1
	v_med3_i32 v2, v10, 0, 13
	s_delay_alu instid0(VALU_DEP_2) | instskip(NEXT) | instid1(VALU_DEP_1)
	v_or_b32_e32 v10, 0x1000, v1
	v_lshrrev_b32_e32 v11, v2, v10
	s_delay_alu instid0(VALU_DEP_1) | instskip(NEXT) | instid1(VALU_DEP_1)
	v_lshlrev_b32_e32 v2, v2, v11
	v_cmp_ne_u32_e32 vcc_lo, v2, v10
	v_lshl_or_b32 v10, v8, 12, v1
	v_cndmask_b32_e64 v2, 0, 1, vcc_lo
	v_cmp_gt_i32_e32 vcc_lo, 1, v8
	s_delay_alu instid0(VALU_DEP_2) | instskip(NEXT) | instid1(VALU_DEP_1)
	v_or_b32_e32 v2, v11, v2
	v_cndmask_b32_e32 v2, v10, v2, vcc_lo
	s_delay_alu instid0(VALU_DEP_1) | instskip(NEXT) | instid1(VALU_DEP_1)
	v_dual_lshrrev_b32 v2, 2, v2 :: v_dual_bitop2_b32 v10, 7, v2 bitop3:0x40
	v_cmp_lt_i32_e32 vcc_lo, 5, v10
	v_cndmask_b32_e64 v11, 0, 1, vcc_lo
	v_cmp_eq_u32_e32 vcc_lo, 3, v10
	v_cndmask_b32_e64 v10, 0, 1, vcc_lo
	v_cmp_ne_u32_e32 vcc_lo, 0, v1
	s_delay_alu instid0(VALU_DEP_2) | instskip(SKIP_2) | instid1(VALU_DEP_3)
	v_or_b32_e32 v10, v10, v11
	v_cndmask_b32_e32 v1, 0x7c00, v20, vcc_lo
	v_cmp_gt_i32_e32 vcc_lo, 31, v8
	v_add_nc_u32_e32 v2, v2, v10
	s_delay_alu instid0(VALU_DEP_1) | instskip(SKIP_1) | instid1(VALU_DEP_2)
	v_cndmask_b32_e32 v2, 0x7c00, v2, vcc_lo
	v_cmp_eq_u32_e32 vcc_lo, 0x40f, v8
	v_cndmask_b32_e32 v1, v2, v1, vcc_lo
	v_lshrrev_b32_e32 v2, 16, v9
	s_delay_alu instid0(VALU_DEP_1)
	v_and_or_b32 v1, 0x8000, v2, v1
	global_store_b16 v[6:7], v1, off
.LBB32_28:                              ;   in Loop: Header=BB32_3 Depth=1
	s_and_not1_b32 vcc_lo, exec_lo, s19
	s_cbranch_vccnz .LBB32_2
; %bb.29:                               ;   in Loop: Header=BB32_3 Depth=1
	s_wait_xcnt 0x0
	v_and_or_b32 v1, 0x1ff, v5, v4
	v_lshrrev_b32_e32 v2, 8, v5
	v_bfe_u32 v4, v5, 20, 11
	s_delay_alu instid0(VALU_DEP_3) | instskip(NEXT) | instid1(VALU_DEP_2)
	v_cmp_ne_u32_e32 vcc_lo, 0, v1
	v_sub_nc_u32_e32 v8, 0x3f1, v4
	v_add_nc_u32_e32 v4, 0xfffffc10, v4
	v_cndmask_b32_e64 v1, 0, 1, vcc_lo
	s_delay_alu instid0(VALU_DEP_1) | instskip(NEXT) | instid1(VALU_DEP_4)
	v_and_or_b32 v1, 0xffe, v2, v1
	v_med3_i32 v2, v8, 0, 13
	s_delay_alu instid0(VALU_DEP_2) | instskip(NEXT) | instid1(VALU_DEP_1)
	v_or_b32_e32 v8, 0x1000, v1
	v_lshrrev_b32_e32 v9, v2, v8
	s_delay_alu instid0(VALU_DEP_1) | instskip(NEXT) | instid1(VALU_DEP_1)
	v_lshlrev_b32_e32 v2, v2, v9
	v_cmp_ne_u32_e32 vcc_lo, v2, v8
	v_lshl_or_b32 v8, v4, 12, v1
	v_cndmask_b32_e64 v2, 0, 1, vcc_lo
	v_cmp_gt_i32_e32 vcc_lo, 1, v4
	s_delay_alu instid0(VALU_DEP_2) | instskip(NEXT) | instid1(VALU_DEP_1)
	v_or_b32_e32 v2, v9, v2
	v_cndmask_b32_e32 v2, v8, v2, vcc_lo
	s_delay_alu instid0(VALU_DEP_1) | instskip(NEXT) | instid1(VALU_DEP_1)
	v_dual_lshrrev_b32 v2, 2, v2 :: v_dual_bitop2_b32 v8, 7, v2 bitop3:0x40
	v_cmp_lt_i32_e32 vcc_lo, 5, v8
	v_cndmask_b32_e64 v9, 0, 1, vcc_lo
	v_cmp_eq_u32_e32 vcc_lo, 3, v8
	v_cndmask_b32_e64 v8, 0, 1, vcc_lo
	v_cmp_ne_u32_e32 vcc_lo, 0, v1
	s_delay_alu instid0(VALU_DEP_2) | instskip(SKIP_2) | instid1(VALU_DEP_3)
	v_or_b32_e32 v8, v8, v9
	v_cndmask_b32_e32 v1, 0x7c00, v20, vcc_lo
	v_cmp_gt_i32_e32 vcc_lo, 31, v4
	v_add_nc_u32_e32 v2, v2, v8
	s_delay_alu instid0(VALU_DEP_1) | instskip(SKIP_1) | instid1(VALU_DEP_2)
	v_cndmask_b32_e32 v2, 0x7c00, v2, vcc_lo
	v_cmp_eq_u32_e32 vcc_lo, 0x40f, v4
	v_cndmask_b32_e32 v1, v2, v1, vcc_lo
	v_lshrrev_b32_e32 v2, 16, v5
	s_delay_alu instid0(VALU_DEP_1)
	v_and_or_b32 v1, 0x8000, v2, v1
	global_store_b16 v[6:7], v1, off
	s_branch .LBB32_2
.LBB32_30:
	s_endpgm
	.section	.rodata,"a",@progbits
	.p2align	6, 0x0
	.amdhsa_kernel naive_conv_ab_packed_bwd_nhwc_half_double_half
		.amdhsa_group_segment_fixed_size 0
		.amdhsa_private_segment_fixed_size 0
		.amdhsa_kernarg_size 480
		.amdhsa_user_sgpr_count 2
		.amdhsa_user_sgpr_dispatch_ptr 0
		.amdhsa_user_sgpr_queue_ptr 0
		.amdhsa_user_sgpr_kernarg_segment_ptr 1
		.amdhsa_user_sgpr_dispatch_id 0
		.amdhsa_user_sgpr_kernarg_preload_length 0
		.amdhsa_user_sgpr_kernarg_preload_offset 0
		.amdhsa_user_sgpr_private_segment_size 0
		.amdhsa_wavefront_size32 1
		.amdhsa_uses_dynamic_stack 0
		.amdhsa_enable_private_segment 0
		.amdhsa_system_sgpr_workgroup_id_x 1
		.amdhsa_system_sgpr_workgroup_id_y 0
		.amdhsa_system_sgpr_workgroup_id_z 0
		.amdhsa_system_sgpr_workgroup_info 0
		.amdhsa_system_vgpr_workitem_id 0
		.amdhsa_next_free_vgpr 26
		.amdhsa_next_free_sgpr 69
		.amdhsa_named_barrier_count 0
		.amdhsa_reserve_vcc 1
		.amdhsa_float_round_mode_32 0
		.amdhsa_float_round_mode_16_64 0
		.amdhsa_float_denorm_mode_32 3
		.amdhsa_float_denorm_mode_16_64 3
		.amdhsa_fp16_overflow 0
		.amdhsa_memory_ordered 1
		.amdhsa_forward_progress 1
		.amdhsa_inst_pref_size 21
		.amdhsa_round_robin_scheduling 0
		.amdhsa_exception_fp_ieee_invalid_op 0
		.amdhsa_exception_fp_denorm_src 0
		.amdhsa_exception_fp_ieee_div_zero 0
		.amdhsa_exception_fp_ieee_overflow 0
		.amdhsa_exception_fp_ieee_underflow 0
		.amdhsa_exception_fp_ieee_inexact 0
		.amdhsa_exception_int_div_zero 0
	.end_amdhsa_kernel
	.text
.Lfunc_end32:
	.size	naive_conv_ab_packed_bwd_nhwc_half_double_half, .Lfunc_end32-naive_conv_ab_packed_bwd_nhwc_half_double_half
                                        ; -- End function
	.set naive_conv_ab_packed_bwd_nhwc_half_double_half.num_vgpr, 26
	.set naive_conv_ab_packed_bwd_nhwc_half_double_half.num_agpr, 0
	.set naive_conv_ab_packed_bwd_nhwc_half_double_half.numbered_sgpr, 69
	.set naive_conv_ab_packed_bwd_nhwc_half_double_half.num_named_barrier, 0
	.set naive_conv_ab_packed_bwd_nhwc_half_double_half.private_seg_size, 0
	.set naive_conv_ab_packed_bwd_nhwc_half_double_half.uses_vcc, 1
	.set naive_conv_ab_packed_bwd_nhwc_half_double_half.uses_flat_scratch, 0
	.set naive_conv_ab_packed_bwd_nhwc_half_double_half.has_dyn_sized_stack, 0
	.set naive_conv_ab_packed_bwd_nhwc_half_double_half.has_recursion, 0
	.set naive_conv_ab_packed_bwd_nhwc_half_double_half.has_indirect_call, 0
	.section	.AMDGPU.csdata,"",@progbits
; Kernel info:
; codeLenInByte = 2644
; TotalNumSgprs: 71
; NumVgprs: 26
; ScratchSize: 0
; MemoryBound: 0
; FloatMode: 240
; IeeeMode: 1
; LDSByteSize: 0 bytes/workgroup (compile time only)
; SGPRBlocks: 0
; VGPRBlocks: 1
; NumSGPRsForWavesPerEU: 71
; NumVGPRsForWavesPerEU: 26
; NamedBarCnt: 0
; Occupancy: 16
; WaveLimiterHint : 0
; COMPUTE_PGM_RSRC2:SCRATCH_EN: 0
; COMPUTE_PGM_RSRC2:USER_SGPR: 2
; COMPUTE_PGM_RSRC2:TRAP_HANDLER: 0
; COMPUTE_PGM_RSRC2:TGID_X_EN: 1
; COMPUTE_PGM_RSRC2:TGID_Y_EN: 0
; COMPUTE_PGM_RSRC2:TGID_Z_EN: 0
; COMPUTE_PGM_RSRC2:TIDIG_COMP_CNT: 0
	.text
	.protected	naive_conv_ab_nonpacked_bwd_nhwc_half_double_half ; -- Begin function naive_conv_ab_nonpacked_bwd_nhwc_half_double_half
	.globl	naive_conv_ab_nonpacked_bwd_nhwc_half_double_half
	.p2align	8
	.type	naive_conv_ab_nonpacked_bwd_nhwc_half_double_half,@function
naive_conv_ab_nonpacked_bwd_nhwc_half_double_half: ; @naive_conv_ab_nonpacked_bwd_nhwc_half_double_half
; %bb.0:
	s_load_b512 s[4:19], s[0:1], 0xa0
	s_bfe_u32 s2, ttmp6, 0x4000c
	s_and_b32 s3, ttmp6, 15
	s_add_co_i32 s2, s2, 1
	s_getreg_b32 s20, hwreg(HW_REG_IB_STS2, 6, 4)
	s_mul_i32 s2, ttmp9, s2
	s_delay_alu instid0(SALU_CYCLE_1) | instskip(SKIP_2) | instid1(SALU_CYCLE_1)
	s_add_co_i32 s3, s3, s2
	s_cmp_eq_u32 s20, 0
	s_cselect_b32 s28, ttmp9, s3
	s_abs_i32 s21, s28
	s_wait_kmcnt 0x0
	s_abs_i32 s2, s4
	s_delay_alu instid0(SALU_CYCLE_1) | instskip(SKIP_1) | instid1(SALU_CYCLE_2)
	s_cvt_f32_u32 s3, s2
	s_sub_co_i32 s20, 0, s2
	v_rcp_iflag_f32_e32 v1, s3
	v_nop
	s_delay_alu instid0(TRANS32_DEP_1) | instskip(SKIP_1) | instid1(SALU_CYCLE_3)
	v_readfirstlane_b32 s3, v1
	s_mul_f32 s3, s3, 0x4f7ffffe
	s_cvt_u32_f32 s3, s3
	s_delay_alu instid0(SALU_CYCLE_3) | instskip(NEXT) | instid1(SALU_CYCLE_1)
	s_mul_i32 s20, s20, s3
	s_mul_hi_u32 s20, s3, s20
	s_delay_alu instid0(SALU_CYCLE_1) | instskip(NEXT) | instid1(SALU_CYCLE_1)
	s_add_co_i32 s3, s3, s20
	s_mul_hi_u32 s3, s21, s3
	s_delay_alu instid0(SALU_CYCLE_1) | instskip(NEXT) | instid1(SALU_CYCLE_1)
	s_mul_i32 s20, s3, s2
	s_sub_co_i32 s20, s21, s20
	s_add_co_i32 s21, s3, 1
	s_sub_co_i32 s22, s20, s2
	s_cmp_ge_u32 s20, s2
	s_cselect_b32 s3, s21, s3
	s_cselect_b32 s20, s22, s20
	s_add_co_i32 s21, s3, 1
	s_cmp_ge_u32 s20, s2
	s_mov_b32 s20, exec_lo
	s_cselect_b32 s2, s21, s3
	s_abs_i32 s29, s6
	s_mul_i32 s6, s19, s8
	s_cvt_f32_u32 s3, s29
	s_mul_i32 s19, s6, s5
	s_delay_alu instid0(SALU_CYCLE_2) | instskip(SKIP_2) | instid1(TRANS32_DEP_1)
	v_rcp_iflag_f32_e32 v1, s3
	s_mov_b32 s3, 0
	v_nop
	v_readfirstlane_b32 s5, v1
	v_cmpx_gt_i32_e64 s19, v0
	s_cbranch_execz .LBB33_30
; %bb.1:
	s_mul_f32 s5, s5, 0x4f7ffffe
	s_xor_b32 s30, s28, s4
	s_sub_co_i32 s33, 0, s29
	s_ashr_i32 s30, s30, 31
	s_cvt_u32_f32 s5, s5
	s_xor_b32 s2, s2, s30
	s_mov_b32 s31, s3
	s_sub_co_i32 s34, s2, s30
	s_mul_i32 s33, s33, s5
	s_abs_i32 s2, s34
	s_mul_hi_u32 s30, s5, s33
	s_load_b256 s[20:27], s[0:1], 0x0
	s_add_co_i32 s30, s5, s30
	s_load_b512 s[36:51], s[0:1], 0x28
	s_mul_u64 s[30:31], s[2:3], s[30:31]
	s_ashr_i32 s5, s34, 31
	s_mul_i32 s30, s31, s29
	s_mul_i32 s34, s34, s4
	s_sub_co_i32 s2, s2, s30
	s_sub_co_i32 s4, s28, s34
	s_sub_co_i32 s28, s2, s29
	s_cmp_ge_u32 s2, s29
	s_load_b32 s66, s[0:1], 0xec
	s_cselect_b32 s2, s28, s2
	s_load_b64 s[72:73], s[0:1], 0x20
	s_sub_co_i32 s28, s2, s29
	s_cmp_ge_u32 s2, s29
	s_load_b256 s[52:59], s[0:1], 0x68
	s_cselect_b32 s2, s28, s2
	v_mov_b32_e32 v3, 0
	s_xor_b32 s2, s2, s5
	s_wait_kmcnt 0x0
	v_cmp_neq_f64_e64 s70, s[24:25], 1.0
	s_sub_co_i32 s60, s2, s5
	s_ashr_i32 s5, s4, 31
	s_ashr_i32 s61, s60, 31
	s_mul_u64 s[28:29], s[42:43], s[4:5]
	s_mul_u64 s[30:31], s[44:45], s[60:61]
	v_cmp_neq_f64_e64 s2, s[26:27], 0
	s_lshl_b64 s[34:35], s[28:29], 1
	s_lshl_b64 s[42:43], s[30:31], 1
	s_cmp_lt_i32 s17, 1
	s_clause 0x1
	s_load_b64 s[74:75], s[0:1], 0x98
	s_load_b128 s[28:31], s[0:1], 0x88
	s_cselect_b32 s33, -1, 0
	s_add_co_i32 s15, s4, s15
	s_cmp_gt_i32 s18, 0
	s_add_nc_u64 s[4:5], s[20:21], s[42:43]
	s_cselect_b32 s62, -1, 0
	s_cmp_gt_i32 s7, 0
	s_wait_xcnt 0x0
	s_add_nc_u64 s[0:1], s[4:5], s[34:35]
	s_cselect_b32 s63, -1, 0
	s_abs_i32 s65, s8
	s_abs_i32 s64, s6
	s_cvt_f32_u32 s20, s65
	s_cvt_f32_u32 s44, s64
	s_abs_i32 s68, s11
	s_abs_i32 s69, s12
	v_rcp_iflag_f32_e32 v2, s20
	v_rcp_iflag_f32_e32 v1, s44
	s_cvt_f32_u32 s20, s68
	s_cvt_f32_u32 s35, s69
	s_sub_co_i32 s34, 0, s65
	s_sub_co_i32 s5, 0, s64
	s_lshl_b64 s[44:45], s[46:47], 1
	v_readfirstlane_b32 s21, v2
	v_readfirstlane_b32 s4, v1
	v_rcp_iflag_f32_e32 v1, s20
	v_rcp_iflag_f32_e32 v2, s35
	s_lshl_b64 s[46:47], s[54:55], 1
	s_mul_f32 s20, s21, 0x4f7ffffe
	s_or_b32 s70, s70, s2
	s_mul_f32 s4, s4, 0x4f7ffffe
	s_wait_kmcnt 0x0
	s_mul_u64 s[54:55], s[74:75], s[60:61]
	s_cvt_u32_f32 s2, s20
	v_readfirstlane_b32 s20, v1
	v_readfirstlane_b32 s35, v2
	s_cvt_u32_f32 s4, s4
	s_mul_i32 s34, s34, s2
	v_mov_b32_e32 v11, 0x7e00
	s_mul_hi_u32 s21, s2, s34
	s_mul_f32 s34, s20, 0x4f7ffffe
	s_add_co_i32 s20, s2, s21
	s_mul_i32 s5, s5, s4
	s_lshl_b64 s[54:55], s[54:55], 1
	s_cvt_u32_f32 s2, s34
	s_mul_f32 s34, s35, 0x4f7ffffe
	s_sub_co_i32 s35, 0, s68
	s_mul_hi_u32 s5, s4, s5
	s_mul_i32 s35, s35, s2
	s_cvt_u32_f32 s42, s34
	s_mul_hi_u32 s34, s2, s35
	s_sub_co_i32 s35, 0, s69
	s_add_co_i32 s34, s2, s34
	s_mul_i32 s2, s35, s42
	s_and_b32 s66, s66, 0xffff
	s_mul_hi_u32 s2, s42, s2
	s_ashr_i32 s67, s6, 31
	s_add_co_i32 s4, s4, s5
	s_mov_b32 s5, s3
	s_ashr_i32 s71, s8, 31
	s_mov_b32 s21, s3
	s_ashr_i32 s11, s11, 31
	;; [unrolled: 2-line block ×3, first 2 shown]
	s_add_co_i32 s42, s42, s2
	s_mov_b32 s43, s3
	s_lshl_b64 s[50:51], s[50:51], 1
	s_lshl_b64 s[48:49], s[48:49], 1
	;; [unrolled: 1-line block ×3, first 2 shown]
	s_add_nc_u64 s[54:55], s[72:73], s[54:55]
	s_lshl_b64 s[58:59], s[58:59], 1
	s_lshl_b64 s[30:31], s[30:31], 1
	;; [unrolled: 1-line block ×4, first 2 shown]
	s_mov_b32 s72, 0
	s_branch .LBB33_3
.LBB33_2:                               ;   in Loop: Header=BB33_3 Depth=1
	v_add_nc_u32_e32 v0, s66, v0
	s_delay_alu instid0(VALU_DEP_1)
	v_cmp_le_i32_e32 vcc_lo, s19, v0
	s_or_b32 s72, vcc_lo, s72
	s_wait_xcnt 0x0
	s_and_not1_b32 exec_lo, exec_lo, s72
	s_cbranch_execz .LBB33_30
.LBB33_3:                               ; =>This Loop Header: Depth=1
                                        ;     Child Loop BB33_8 Depth 2
                                        ;       Child Loop BB33_17 Depth 3
                                        ;         Child Loop BB33_24 Depth 4
	v_sub_nc_u32_e32 v1, 0, v0
	s_mov_b32 s2, -1
	s_delay_alu instid0(VALU_DEP_1) | instskip(NEXT) | instid1(VALU_DEP_1)
	v_max_i32_e32 v2, v0, v1
	v_mul_u64_e32 v[4:5], s[4:5], v[2:3]
	s_delay_alu instid0(VALU_DEP_1) | instskip(NEXT) | instid1(VALU_DEP_1)
	v_mul_lo_u32 v1, v5, s64
	v_sub_nc_u32_e32 v1, v2, v1
	v_add_nc_u32_e32 v2, 1, v5
	s_delay_alu instid0(VALU_DEP_2) | instskip(NEXT) | instid1(VALU_DEP_2)
	v_cmp_le_u32_e32 vcc_lo, s64, v1
	v_cndmask_b32_e32 v2, v5, v2, vcc_lo
	v_subrev_nc_u32_e32 v4, s64, v1
	v_ashrrev_i32_e32 v5, 31, v0
	s_delay_alu instid0(VALU_DEP_2) | instskip(NEXT) | instid1(VALU_DEP_1)
	v_dual_cndmask_b32 v1, v1, v4 :: v_dual_add_nc_u32 v4, 1, v2
	v_cmp_le_u32_e32 vcc_lo, s64, v1
	s_delay_alu instid0(VALU_DEP_2) | instskip(NEXT) | instid1(VALU_DEP_1)
	v_dual_cndmask_b32 v1, v2, v4, vcc_lo :: v_dual_bitop2_b32 v5, s67, v5 bitop3:0x14
	v_xor_b32_e32 v1, v1, v5
	s_delay_alu instid0(VALU_DEP_1) | instskip(NEXT) | instid1(VALU_DEP_1)
	v_sub_nc_u32_e32 v6, v1, v5
	v_mul_lo_u32 v1, v6, s6
	s_delay_alu instid0(VALU_DEP_1) | instskip(NEXT) | instid1(VALU_DEP_1)
	v_sub_nc_u32_e32 v12, v0, v1
	v_sub_nc_u32_e32 v1, 0, v12
	s_delay_alu instid0(VALU_DEP_1) | instskip(NEXT) | instid1(VALU_DEP_1)
	v_max_i32_e32 v2, v12, v1
	v_mul_u64_e32 v[4:5], s[20:21], v[2:3]
	s_delay_alu instid0(VALU_DEP_1) | instskip(NEXT) | instid1(VALU_DEP_1)
	v_mul_lo_u32 v1, v5, s65
	v_sub_nc_u32_e32 v1, v2, v1
	v_dual_add_nc_u32 v2, 1, v5 :: v_dual_ashrrev_i32 v13, 31, v12
	s_delay_alu instid0(VALU_DEP_2) | instskip(SKIP_1) | instid1(VALU_DEP_3)
	v_subrev_nc_u32_e32 v4, s65, v1
	v_cmp_le_u32_e32 vcc_lo, s65, v1
	v_dual_cndmask_b32 v2, v5, v2, vcc_lo :: v_dual_bitop2_b32 v5, s71, v13 bitop3:0x14
	s_delay_alu instid0(VALU_DEP_1) | instskip(NEXT) | instid1(VALU_DEP_1)
	v_dual_cndmask_b32 v1, v1, v4 :: v_dual_add_nc_u32 v4, 1, v2
	v_cmp_le_u32_e32 vcc_lo, s65, v1
	s_delay_alu instid0(VALU_DEP_2) | instskip(SKIP_1) | instid1(VALU_DEP_1)
	v_cndmask_b32_e32 v1, v2, v4, vcc_lo
	s_and_not1_b32 vcc_lo, exec_lo, s33
	v_xor_b32_e32 v1, v1, v5
	s_delay_alu instid0(VALU_DEP_1) | instskip(NEXT) | instid1(VALU_DEP_1)
	v_sub_nc_u32_e32 v8, v1, v5
	v_mul_lo_u32 v14, v8, s8
	s_delay_alu instid0(VALU_DEP_1) | instskip(NEXT) | instid1(VALU_DEP_1)
	v_sub_nc_u32_e32 v10, v12, v14
	v_dual_ashrrev_i32 v1, 31, v10 :: v_dual_ashrrev_i32 v9, 31, v8
	s_cbranch_vccnz .LBB33_5
; %bb.4:                                ;   in Loop: Header=BB33_3 Depth=1
	s_mov_b32 s2, 0
.LBB33_5:                               ;   in Loop: Header=BB33_3 Depth=1
	v_mov_b64_e32 v[4:5], 0
	s_and_not1_b32 vcc_lo, exec_lo, s2
	s_cbranch_vccnz .LBB33_26
; %bb.6:                                ;   in Loop: Header=BB33_3 Depth=1
	v_mul_u64_e32 v[4:5], s[46:47], v[8:9]
	v_ashrrev_i32_e32 v15, 31, v14
	s_mov_b32 s73, 0
	s_delay_alu instid0(VALU_DEP_1) | instskip(SKIP_1) | instid1(VALU_DEP_1)
	v_sub_nc_u64_e32 v[14:15], v[12:13], v[14:15]
	v_mad_nc_u64_u32 v[12:13], s58, v8, s[54:55]
	v_mad_u32 v7, s59, v8, v13
	s_delay_alu instid0(VALU_DEP_1) | instskip(SKIP_2) | instid1(VALU_DEP_1)
	v_mad_u32 v13, s58, v9, v7
	v_add_nc_u32_e32 v7, s16, v6
	v_mad_nc_u64_u32 v[4:5], s44, v14, v[4:5]
	v_mad_u32 v2, s45, v14, v5
	s_delay_alu instid0(VALU_DEP_1) | instskip(NEXT) | instid1(VALU_DEP_1)
	v_mad_u32 v5, s44, v15, v2
	v_add_nc_u64_e32 v[14:15], s[22:23], v[4:5]
	v_mov_b64_e32 v[4:5], 0
	s_branch .LBB33_8
.LBB33_7:                               ;   in Loop: Header=BB33_8 Depth=2
	v_add_nc_u64_e32 v[14:15], s[50:51], v[14:15]
	s_add_co_i32 s73, s73, 1
	s_delay_alu instid0(SALU_CYCLE_1)
	s_cmp_eq_u32 s73, s17
	s_cbranch_scc1 .LBB33_26
.LBB33_8:                               ;   Parent Loop BB33_3 Depth=1
                                        ; =>  This Loop Header: Depth=2
                                        ;       Child Loop BB33_17 Depth 3
                                        ;         Child Loop BB33_24 Depth 4
	s_mul_i32 s2, s13, s73
	s_mov_b32 s77, -1
	s_sub_co_i32 s75, s15, s2
	s_mov_b32 s76, 0
	s_cmp_gt_i32 s75, -1
                                        ; implicit-def: $sgpr60
                                        ; implicit-def: $sgpr61
                                        ; implicit-def: $sgpr2
                                        ; implicit-def: $sgpr74
	s_cbranch_scc1 .LBB33_12
; %bb.9:                                ;   in Loop: Header=BB33_8 Depth=2
	s_and_not1_b32 vcc_lo, exec_lo, s77
	s_cbranch_vccz .LBB33_13
.LBB33_10:                              ;   in Loop: Header=BB33_8 Depth=2
	s_and_not1_b32 vcc_lo, exec_lo, s76
	s_mov_b32 s75, 1
	s_cbranch_vccz .LBB33_14
; %bb.11:                               ;   in Loop: Header=BB33_8 Depth=2
	s_and_not1_b32 vcc_lo, exec_lo, s62
	s_cbranch_vccz .LBB33_15
	s_branch .LBB33_7
.LBB33_12:                              ;   in Loop: Header=BB33_8 Depth=2
	s_abs_i32 s2, s75
	s_delay_alu instid0(SALU_CYCLE_1) | instskip(NEXT) | instid1(SALU_CYCLE_1)
	s_mul_u64 s[60:61], s[2:3], s[34:35]
	s_mul_i32 s60, s61, s68
	s_delay_alu instid0(SALU_CYCLE_1) | instskip(SKIP_4) | instid1(SALU_CYCLE_1)
	s_sub_co_i32 s2, s2, s60
	s_ashr_i32 s60, s75, 31
	s_sub_co_i32 s74, s2, s68
	s_cmp_ge_u32 s2, s68
	s_cselect_b32 s76, s74, s2
	s_sub_co_i32 s77, s76, s68
	s_cmp_ge_u32 s76, s68
	s_cselect_b32 s76, s77, s76
	s_delay_alu instid0(SALU_CYCLE_1) | instskip(NEXT) | instid1(SALU_CYCLE_1)
	s_xor_b32 s76, s76, s60
	s_sub_co_i32 s76, s76, s60
	s_delay_alu instid0(SALU_CYCLE_1)
	s_cmp_lg_u32 s76, 0
	s_cselect_b32 s76, -1, 0
	s_cbranch_execnz .LBB33_10
.LBB33_13:                              ;   in Loop: Header=BB33_8 Depth=2
	s_abs_i32 s2, s75
	s_delay_alu instid0(SALU_CYCLE_1) | instskip(NEXT) | instid1(SALU_CYCLE_1)
	s_mul_u64 s[60:61], s[2:3], s[34:35]
	s_mul_i32 s60, s61, s68
	s_delay_alu instid0(SALU_CYCLE_1)
	s_sub_co_i32 s2, s2, s60
	s_ashr_i32 s60, s75, 31
	s_sub_co_i32 s74, s2, s68
	s_mov_b32 s75, 1
.LBB33_14:                              ;   in Loop: Header=BB33_8 Depth=2
	s_mov_b32 s75, 0
	s_and_not1_b32 vcc_lo, exec_lo, s62
	s_cbranch_vccnz .LBB33_7
.LBB33_15:                              ;   in Loop: Header=BB33_8 Depth=2
	s_xor_b32 s60, s60, s11
	s_add_co_i32 s76, s61, 1
	s_cmp_ge_u32 s2, s68
	v_mov_b64_e32 v[18:19], v[14:15]
	s_cselect_b32 s61, s76, s61
	s_cselect_b32 s2, s74, s2
	s_add_co_i32 s74, s61, 1
	s_cmp_ge_u32 s2, s68
	s_cselect_b32 s2, s74, s61
	s_delay_alu instid0(SALU_CYCLE_1) | instskip(NEXT) | instid1(SALU_CYCLE_1)
	s_xor_b32 s2, s2, s60
	s_sub_co_i32 s60, s2, s60
	s_delay_alu instid0(SALU_CYCLE_1)
	v_mad_nc_u64_u32 v[16:17], s30, s60, v[12:13]
	s_cmp_lt_i32 s60, s9
	s_cselect_b32 s2, s75, 0
	s_ashr_i32 s61, s60, 31
	s_mul_i32 s60, s31, s60
	s_mul_i32 s61, s30, s61
	s_delay_alu instid0(VALU_DEP_1) | instid1(SALU_CYCLE_1)
	v_add3_u32 v17, s61, s60, v17
	s_mov_b32 s60, 0
	s_branch .LBB33_17
.LBB33_16:                              ;   in Loop: Header=BB33_17 Depth=3
	v_add_nc_u64_e32 v[18:19], s[48:49], v[18:19]
	s_add_co_i32 s60, s60, 1
	s_delay_alu instid0(SALU_CYCLE_1)
	s_cmp_eq_u32 s60, s18
	s_cbranch_scc1 .LBB33_7
.LBB33_17:                              ;   Parent Loop BB33_3 Depth=1
                                        ;     Parent Loop BB33_8 Depth=2
                                        ; =>    This Loop Header: Depth=3
                                        ;         Child Loop BB33_24 Depth 4
	s_mul_i32 s61, s14, s60
	s_delay_alu instid0(SALU_CYCLE_1) | instskip(NEXT) | instid1(VALU_DEP_1)
	v_subrev_nc_u32_e32 v2, s61, v7
	v_dual_sub_nc_u32 v21, 0, v2 :: v_dual_ashrrev_i32 v20, 31, v2
	v_cmp_gt_i32_e64 s61, 0, v2
	v_cmp_lt_i32_e32 vcc_lo, -1, v2
	s_delay_alu instid0(VALU_DEP_3)
	v_max_i32_e32 v2, v2, v21
	s_and_saveexec_b32 s74, vcc_lo
	s_cbranch_execnz .LBB33_20
; %bb.18:                               ;   in Loop: Header=BB33_17 Depth=3
	s_or_b32 exec_lo, exec_lo, s74
	v_mov_b32_e32 v22, 1
	s_and_saveexec_b32 s74, s61
	s_cbranch_execnz .LBB33_21
.LBB33_19:                              ;   in Loop: Header=BB33_17 Depth=3
	s_or_b32 exec_lo, exec_lo, s74
	s_delay_alu instid0(SALU_CYCLE_1)
	s_and_not1_b32 vcc_lo, exec_lo, s63
	s_cbranch_vccz .LBB33_22
	s_branch .LBB33_16
.LBB33_20:                              ;   in Loop: Header=BB33_17 Depth=3
	s_delay_alu instid0(VALU_DEP_1) | instskip(SKIP_1) | instid1(VALU_DEP_1)
	v_mul_u64_e32 v[22:23], s[42:43], v[2:3]
	s_and_not1_b32 s61, s61, exec_lo
	v_mul_lo_u32 v21, v23, s69
	s_delay_alu instid0(VALU_DEP_1) | instskip(NEXT) | instid1(VALU_DEP_1)
	v_sub_nc_u32_e32 v21, v2, v21
	v_subrev_nc_u32_e32 v22, s69, v21
	v_cmp_le_u32_e32 vcc_lo, s69, v21
	s_delay_alu instid0(VALU_DEP_2) | instskip(NEXT) | instid1(VALU_DEP_1)
	v_cndmask_b32_e32 v21, v21, v22, vcc_lo
	v_subrev_nc_u32_e32 v22, s69, v21
	v_cmp_le_u32_e32 vcc_lo, s69, v21
	s_delay_alu instid0(VALU_DEP_2) | instskip(NEXT) | instid1(VALU_DEP_1)
	v_cndmask_b32_e32 v21, v21, v22, vcc_lo
	v_xor_b32_e32 v21, v21, v20
	s_delay_alu instid0(VALU_DEP_1) | instskip(NEXT) | instid1(VALU_DEP_1)
	v_sub_nc_u32_e32 v21, v21, v20
	v_cmp_ne_u32_e32 vcc_lo, 0, v21
	s_and_b32 s75, vcc_lo, exec_lo
	s_delay_alu instid0(SALU_CYCLE_1)
	s_or_b32 s61, s61, s75
	s_or_b32 exec_lo, exec_lo, s74
	v_mov_b32_e32 v22, 1
	s_and_saveexec_b32 s74, s61
	s_cbranch_execz .LBB33_19
.LBB33_21:                              ;   in Loop: Header=BB33_17 Depth=3
	v_mov_b32_e32 v22, 0
	s_or_b32 exec_lo, exec_lo, s74
	s_delay_alu instid0(SALU_CYCLE_1)
	s_and_not1_b32 vcc_lo, exec_lo, s63
	s_cbranch_vccnz .LBB33_16
.LBB33_22:                              ;   in Loop: Header=BB33_17 Depth=3
	v_mul_u64_e32 v[24:25], s[42:43], v[2:3]
	s_mov_b32 s61, s7
	v_xor_b32_e32 v20, s12, v20
	s_delay_alu instid0(VALU_DEP_2) | instskip(NEXT) | instid1(VALU_DEP_1)
	v_mul_lo_u32 v21, v25, s69
	v_sub_nc_u32_e32 v2, v2, v21
	s_delay_alu instid0(VALU_DEP_1) | instskip(SKIP_1) | instid1(VALU_DEP_1)
	v_cmp_le_u32_e32 vcc_lo, s69, v2
	v_add_nc_u32_e32 v21, 1, v25
	v_cndmask_b32_e32 v21, v25, v21, vcc_lo
	v_subrev_nc_u32_e32 v23, s69, v2
	s_delay_alu instid0(VALU_DEP_1) | instskip(NEXT) | instid1(VALU_DEP_1)
	v_dual_cndmask_b32 v2, v2, v23 :: v_dual_add_nc_u32 v23, 1, v21
	v_cmp_le_u32_e32 vcc_lo, s69, v2
	s_delay_alu instid0(VALU_DEP_2) | instskip(NEXT) | instid1(VALU_DEP_1)
	v_cndmask_b32_e32 v2, v21, v23, vcc_lo
	v_xor_b32_e32 v2, v2, v20
	s_delay_alu instid0(VALU_DEP_1) | instskip(NEXT) | instid1(VALU_DEP_1)
	v_sub_nc_u32_e32 v2, v2, v20
	v_cmp_gt_i32_e32 vcc_lo, s10, v2
	v_cndmask_b32_e32 v22, 0, v22, vcc_lo
	s_delay_alu instid0(VALU_DEP_1) | instskip(SKIP_1) | instid1(VALU_DEP_2)
	v_and_b32_e32 v22, s2, v22
	v_mad_nc_u64_u32 v[20:21], s28, v2, v[16:17]
	v_and_b32_e32 v22, 1, v22
	s_delay_alu instid0(VALU_DEP_1) | instskip(SKIP_1) | instid1(VALU_DEP_4)
	v_cmp_eq_u32_e32 vcc_lo, 1, v22
	v_mov_b64_e32 v[22:23], v[18:19]
	v_mad_u32 v21, s29, v2, v21
	v_ashrrev_i32_e32 v2, 31, v2
	s_delay_alu instid0(VALU_DEP_1)
	v_mad_u32 v21, s28, v2, v21
	s_branch .LBB33_24
.LBB33_23:                              ;   in Loop: Header=BB33_24 Depth=4
	s_wait_xcnt 0x0
	s_or_b32 exec_lo, exec_lo, s74
	v_add_nc_u64_e32 v[22:23], s[52:53], v[22:23]
	s_delay_alu instid0(VALU_DEP_2) | instskip(SKIP_1) | instid1(SALU_CYCLE_1)
	v_add_nc_u64_e32 v[20:21], s[56:57], v[20:21]
	s_add_co_i32 s61, s61, -1
	s_cmp_eq_u32 s61, 0
	s_cbranch_scc1 .LBB33_16
.LBB33_24:                              ;   Parent Loop BB33_3 Depth=1
                                        ;     Parent Loop BB33_8 Depth=2
                                        ;       Parent Loop BB33_17 Depth=3
                                        ; =>      This Inner Loop Header: Depth=4
	s_and_saveexec_b32 s74, vcc_lo
	s_cbranch_execz .LBB33_23
; %bb.25:                               ;   in Loop: Header=BB33_24 Depth=4
	global_load_u16 v2, v[20:21], off
	global_load_u16 v24, v[22:23], off
	s_wait_loadcnt 0x1
	v_cvt_f32_f16_e32 v2, v2
	s_wait_loadcnt 0x0
	v_cvt_f32_f16_e32 v26, v24
	s_delay_alu instid0(VALU_DEP_2) | instskip(NEXT) | instid1(VALU_DEP_2)
	v_cvt_f64_f32_e32 v[24:25], v2
	v_cvt_f64_f32_e32 v[26:27], v26
	s_delay_alu instid0(VALU_DEP_1)
	v_fmac_f64_e32 v[4:5], v[24:25], v[26:27]
	s_branch .LBB33_23
.LBB33_26:                              ;   in Loop: Header=BB33_3 Depth=1
	v_ashrrev_i32_e32 v7, 31, v6
	s_and_b32 vcc_lo, exec_lo, s70
	s_mov_b32 s2, -1
	s_delay_alu instid0(VALU_DEP_1) | instskip(NEXT) | instid1(VALU_DEP_1)
	v_mul_u64_e32 v[6:7], s[40:41], v[6:7]
	v_mad_nc_u64_u32 v[6:7], v10, s36, v[6:7]
	s_delay_alu instid0(VALU_DEP_1) | instskip(NEXT) | instid1(VALU_DEP_1)
	v_mad_u32 v1, v1, s36, v7
	v_mad_u32 v7, v10, s37, v1
	s_delay_alu instid0(VALU_DEP_1) | instskip(NEXT) | instid1(VALU_DEP_1)
	v_mad_nc_u64_u32 v[6:7], v8, s38, v[6:7]
	v_mad_u32 v1, v9, s38, v7
	s_delay_alu instid0(VALU_DEP_1) | instskip(NEXT) | instid1(VALU_DEP_1)
	v_mad_u32 v7, v8, s39, v1
	v_lshl_add_u64 v[6:7], v[6:7], 1, s[0:1]
	s_cbranch_vccz .LBB33_28
; %bb.27:                               ;   in Loop: Header=BB33_3 Depth=1
	global_load_u16 v1, v[6:7], off
	s_mov_b32 s2, 0
	s_wait_loadcnt 0x0
	v_cvt_f32_f16_e32 v1, v1
	s_delay_alu instid0(VALU_DEP_1) | instskip(NEXT) | instid1(VALU_DEP_1)
	v_cvt_f64_f32_e32 v[8:9], v1
	v_mul_f64_e32 v[8:9], s[26:27], v[8:9]
	s_delay_alu instid0(VALU_DEP_1) | instskip(NEXT) | instid1(VALU_DEP_1)
	v_fmac_f64_e32 v[8:9], s[24:25], v[4:5]
	v_and_or_b32 v1, 0x1ff, v9, v8
	v_lshrrev_b32_e32 v2, 8, v9
	v_bfe_u32 v8, v9, 20, 11
	s_delay_alu instid0(VALU_DEP_3) | instskip(NEXT) | instid1(VALU_DEP_2)
	v_cmp_ne_u32_e32 vcc_lo, 0, v1
	v_sub_nc_u32_e32 v10, 0x3f1, v8
	v_add_nc_u32_e32 v8, 0xfffffc10, v8
	v_cndmask_b32_e64 v1, 0, 1, vcc_lo
	s_delay_alu instid0(VALU_DEP_1) | instskip(NEXT) | instid1(VALU_DEP_4)
	v_and_or_b32 v1, 0xffe, v2, v1
	v_med3_i32 v2, v10, 0, 13
	s_delay_alu instid0(VALU_DEP_2) | instskip(NEXT) | instid1(VALU_DEP_1)
	v_or_b32_e32 v10, 0x1000, v1
	v_lshrrev_b32_e32 v12, v2, v10
	s_delay_alu instid0(VALU_DEP_1) | instskip(NEXT) | instid1(VALU_DEP_1)
	v_lshlrev_b32_e32 v2, v2, v12
	v_cmp_ne_u32_e32 vcc_lo, v2, v10
	v_lshl_or_b32 v10, v8, 12, v1
	v_cndmask_b32_e64 v2, 0, 1, vcc_lo
	v_cmp_gt_i32_e32 vcc_lo, 1, v8
	s_delay_alu instid0(VALU_DEP_2) | instskip(NEXT) | instid1(VALU_DEP_1)
	v_or_b32_e32 v2, v12, v2
	v_cndmask_b32_e32 v2, v10, v2, vcc_lo
	s_delay_alu instid0(VALU_DEP_1) | instskip(NEXT) | instid1(VALU_DEP_1)
	v_dual_lshrrev_b32 v2, 2, v2 :: v_dual_bitop2_b32 v10, 7, v2 bitop3:0x40
	v_cmp_lt_i32_e32 vcc_lo, 5, v10
	v_cndmask_b32_e64 v12, 0, 1, vcc_lo
	v_cmp_eq_u32_e32 vcc_lo, 3, v10
	v_cndmask_b32_e64 v10, 0, 1, vcc_lo
	v_cmp_ne_u32_e32 vcc_lo, 0, v1
	s_delay_alu instid0(VALU_DEP_2) | instskip(SKIP_2) | instid1(VALU_DEP_3)
	v_or_b32_e32 v10, v10, v12
	v_cndmask_b32_e32 v1, 0x7c00, v11, vcc_lo
	v_cmp_gt_i32_e32 vcc_lo, 31, v8
	v_add_nc_u32_e32 v2, v2, v10
	s_delay_alu instid0(VALU_DEP_1) | instskip(SKIP_1) | instid1(VALU_DEP_2)
	v_cndmask_b32_e32 v2, 0x7c00, v2, vcc_lo
	v_cmp_eq_u32_e32 vcc_lo, 0x40f, v8
	v_cndmask_b32_e32 v1, v2, v1, vcc_lo
	v_lshrrev_b32_e32 v2, 16, v9
	s_delay_alu instid0(VALU_DEP_1)
	v_and_or_b32 v1, 0x8000, v2, v1
	global_store_b16 v[6:7], v1, off
.LBB33_28:                              ;   in Loop: Header=BB33_3 Depth=1
	s_and_not1_b32 vcc_lo, exec_lo, s2
	s_cbranch_vccnz .LBB33_2
; %bb.29:                               ;   in Loop: Header=BB33_3 Depth=1
	s_wait_xcnt 0x0
	v_and_or_b32 v1, 0x1ff, v5, v4
	v_lshrrev_b32_e32 v2, 8, v5
	v_bfe_u32 v4, v5, 20, 11
	s_delay_alu instid0(VALU_DEP_3) | instskip(NEXT) | instid1(VALU_DEP_2)
	v_cmp_ne_u32_e32 vcc_lo, 0, v1
	v_sub_nc_u32_e32 v8, 0x3f1, v4
	v_add_nc_u32_e32 v4, 0xfffffc10, v4
	v_cndmask_b32_e64 v1, 0, 1, vcc_lo
	s_delay_alu instid0(VALU_DEP_1) | instskip(NEXT) | instid1(VALU_DEP_4)
	v_and_or_b32 v1, 0xffe, v2, v1
	v_med3_i32 v2, v8, 0, 13
	s_delay_alu instid0(VALU_DEP_2) | instskip(NEXT) | instid1(VALU_DEP_1)
	v_or_b32_e32 v8, 0x1000, v1
	v_lshrrev_b32_e32 v9, v2, v8
	s_delay_alu instid0(VALU_DEP_1) | instskip(NEXT) | instid1(VALU_DEP_1)
	v_lshlrev_b32_e32 v2, v2, v9
	v_cmp_ne_u32_e32 vcc_lo, v2, v8
	v_lshl_or_b32 v8, v4, 12, v1
	v_cndmask_b32_e64 v2, 0, 1, vcc_lo
	v_cmp_gt_i32_e32 vcc_lo, 1, v4
	s_delay_alu instid0(VALU_DEP_2) | instskip(NEXT) | instid1(VALU_DEP_1)
	v_or_b32_e32 v2, v9, v2
	v_cndmask_b32_e32 v2, v8, v2, vcc_lo
	s_delay_alu instid0(VALU_DEP_1) | instskip(NEXT) | instid1(VALU_DEP_1)
	v_dual_lshrrev_b32 v2, 2, v2 :: v_dual_bitop2_b32 v8, 7, v2 bitop3:0x40
	v_cmp_lt_i32_e32 vcc_lo, 5, v8
	v_cndmask_b32_e64 v9, 0, 1, vcc_lo
	v_cmp_eq_u32_e32 vcc_lo, 3, v8
	v_cndmask_b32_e64 v8, 0, 1, vcc_lo
	v_cmp_ne_u32_e32 vcc_lo, 0, v1
	s_delay_alu instid0(VALU_DEP_2) | instskip(SKIP_2) | instid1(VALU_DEP_3)
	v_or_b32_e32 v8, v8, v9
	v_cndmask_b32_e32 v1, 0x7c00, v11, vcc_lo
	v_cmp_gt_i32_e32 vcc_lo, 31, v4
	v_add_nc_u32_e32 v2, v2, v8
	s_delay_alu instid0(VALU_DEP_1) | instskip(SKIP_1) | instid1(VALU_DEP_2)
	v_cndmask_b32_e32 v2, 0x7c00, v2, vcc_lo
	v_cmp_eq_u32_e32 vcc_lo, 0x40f, v4
	v_cndmask_b32_e32 v1, v2, v1, vcc_lo
	v_lshrrev_b32_e32 v2, 16, v5
	s_delay_alu instid0(VALU_DEP_1)
	v_and_or_b32 v1, 0x8000, v2, v1
	global_store_b16 v[6:7], v1, off
	s_branch .LBB33_2
.LBB33_30:
	s_endpgm
	.section	.rodata,"a",@progbits
	.p2align	6, 0x0
	.amdhsa_kernel naive_conv_ab_nonpacked_bwd_nhwc_half_double_half
		.amdhsa_group_segment_fixed_size 0
		.amdhsa_private_segment_fixed_size 0
		.amdhsa_kernarg_size 480
		.amdhsa_user_sgpr_count 2
		.amdhsa_user_sgpr_dispatch_ptr 0
		.amdhsa_user_sgpr_queue_ptr 0
		.amdhsa_user_sgpr_kernarg_segment_ptr 1
		.amdhsa_user_sgpr_dispatch_id 0
		.amdhsa_user_sgpr_kernarg_preload_length 0
		.amdhsa_user_sgpr_kernarg_preload_offset 0
		.amdhsa_user_sgpr_private_segment_size 0
		.amdhsa_wavefront_size32 1
		.amdhsa_uses_dynamic_stack 0
		.amdhsa_enable_private_segment 0
		.amdhsa_system_sgpr_workgroup_id_x 1
		.amdhsa_system_sgpr_workgroup_id_y 0
		.amdhsa_system_sgpr_workgroup_id_z 0
		.amdhsa_system_sgpr_workgroup_info 0
		.amdhsa_system_vgpr_workitem_id 0
		.amdhsa_next_free_vgpr 28
		.amdhsa_next_free_sgpr 78
		.amdhsa_named_barrier_count 0
		.amdhsa_reserve_vcc 1
		.amdhsa_float_round_mode_32 0
		.amdhsa_float_round_mode_16_64 0
		.amdhsa_float_denorm_mode_32 3
		.amdhsa_float_denorm_mode_16_64 3
		.amdhsa_fp16_overflow 0
		.amdhsa_memory_ordered 1
		.amdhsa_forward_progress 1
		.amdhsa_inst_pref_size 21
		.amdhsa_round_robin_scheduling 0
		.amdhsa_exception_fp_ieee_invalid_op 0
		.amdhsa_exception_fp_denorm_src 0
		.amdhsa_exception_fp_ieee_div_zero 0
		.amdhsa_exception_fp_ieee_overflow 0
		.amdhsa_exception_fp_ieee_underflow 0
		.amdhsa_exception_fp_ieee_inexact 0
		.amdhsa_exception_int_div_zero 0
	.end_amdhsa_kernel
	.text
.Lfunc_end33:
	.size	naive_conv_ab_nonpacked_bwd_nhwc_half_double_half, .Lfunc_end33-naive_conv_ab_nonpacked_bwd_nhwc_half_double_half
                                        ; -- End function
	.set naive_conv_ab_nonpacked_bwd_nhwc_half_double_half.num_vgpr, 28
	.set naive_conv_ab_nonpacked_bwd_nhwc_half_double_half.num_agpr, 0
	.set naive_conv_ab_nonpacked_bwd_nhwc_half_double_half.numbered_sgpr, 78
	.set naive_conv_ab_nonpacked_bwd_nhwc_half_double_half.num_named_barrier, 0
	.set naive_conv_ab_nonpacked_bwd_nhwc_half_double_half.private_seg_size, 0
	.set naive_conv_ab_nonpacked_bwd_nhwc_half_double_half.uses_vcc, 1
	.set naive_conv_ab_nonpacked_bwd_nhwc_half_double_half.uses_flat_scratch, 0
	.set naive_conv_ab_nonpacked_bwd_nhwc_half_double_half.has_dyn_sized_stack, 0
	.set naive_conv_ab_nonpacked_bwd_nhwc_half_double_half.has_recursion, 0
	.set naive_conv_ab_nonpacked_bwd_nhwc_half_double_half.has_indirect_call, 0
	.section	.AMDGPU.csdata,"",@progbits
; Kernel info:
; codeLenInByte = 2636
; TotalNumSgprs: 80
; NumVgprs: 28
; ScratchSize: 0
; MemoryBound: 0
; FloatMode: 240
; IeeeMode: 1
; LDSByteSize: 0 bytes/workgroup (compile time only)
; SGPRBlocks: 0
; VGPRBlocks: 1
; NumSGPRsForWavesPerEU: 80
; NumVGPRsForWavesPerEU: 28
; NamedBarCnt: 0
; Occupancy: 16
; WaveLimiterHint : 0
; COMPUTE_PGM_RSRC2:SCRATCH_EN: 0
; COMPUTE_PGM_RSRC2:USER_SGPR: 2
; COMPUTE_PGM_RSRC2:TRAP_HANDLER: 0
; COMPUTE_PGM_RSRC2:TGID_X_EN: 1
; COMPUTE_PGM_RSRC2:TGID_Y_EN: 0
; COMPUTE_PGM_RSRC2:TGID_Z_EN: 0
; COMPUTE_PGM_RSRC2:TIDIG_COMP_CNT: 0
	.text
	.protected	naive_conv_ab_packed_bwd_nhwc_ushort_double_ushort ; -- Begin function naive_conv_ab_packed_bwd_nhwc_ushort_double_ushort
	.globl	naive_conv_ab_packed_bwd_nhwc_ushort_double_ushort
	.p2align	8
	.type	naive_conv_ab_packed_bwd_nhwc_ushort_double_ushort,@function
naive_conv_ab_packed_bwd_nhwc_ushort_double_ushort: ; @naive_conv_ab_packed_bwd_nhwc_ushort_double_ushort
; %bb.0:
	s_load_b512 s[4:19], s[0:1], 0xa0
	s_bfe_u32 s2, ttmp6, 0x4000c
	s_and_b32 s3, ttmp6, 15
	s_add_co_i32 s2, s2, 1
	s_getreg_b32 s20, hwreg(HW_REG_IB_STS2, 6, 4)
	s_mul_i32 s2, ttmp9, s2
	s_mov_b32 s29, 0
	s_add_co_i32 s3, s3, s2
	s_cmp_eq_u32 s20, 0
	s_cselect_b32 s3, ttmp9, s3
	s_delay_alu instid0(SALU_CYCLE_1) | instskip(SKIP_2) | instid1(SALU_CYCLE_1)
	s_abs_i32 s22, s3
	s_wait_kmcnt 0x0
	s_abs_i32 s2, s4
	s_cvt_f32_u32 s20, s2
	s_sub_co_i32 s21, 0, s2
	s_delay_alu instid0(SALU_CYCLE_2) | instskip(SKIP_1) | instid1(TRANS32_DEP_1)
	v_rcp_iflag_f32_e32 v1, s20
	v_nop
	v_readfirstlane_b32 s20, v1
	s_mul_f32 s20, s20, 0x4f7ffffe
	s_delay_alu instid0(SALU_CYCLE_3) | instskip(NEXT) | instid1(SALU_CYCLE_3)
	s_cvt_u32_f32 s20, s20
	s_mul_i32 s21, s21, s20
	s_delay_alu instid0(SALU_CYCLE_1) | instskip(NEXT) | instid1(SALU_CYCLE_1)
	s_mul_hi_u32 s21, s20, s21
	s_add_co_i32 s20, s20, s21
	s_delay_alu instid0(SALU_CYCLE_1) | instskip(NEXT) | instid1(SALU_CYCLE_1)
	s_mul_hi_u32 s20, s22, s20
	s_mul_i32 s21, s20, s2
	s_delay_alu instid0(SALU_CYCLE_1)
	s_sub_co_i32 s21, s22, s21
	s_add_co_i32 s22, s20, 1
	s_sub_co_i32 s23, s21, s2
	s_cmp_ge_u32 s21, s2
	s_cselect_b32 s20, s22, s20
	s_cselect_b32 s21, s23, s21
	s_add_co_i32 s22, s20, 1
	s_cmp_ge_u32 s21, s2
	s_cselect_b32 s20, s22, s20
	s_abs_i32 s30, s6
	s_mov_b32 s22, exec_lo
	s_cvt_f32_u32 s2, s30
	s_delay_alu instid0(SALU_CYCLE_3) | instskip(SKIP_1) | instid1(SALU_CYCLE_1)
	v_rcp_iflag_f32_e32 v1, s2
	s_mul_i32 s2, s19, s8
	s_mul_i32 s6, s2, s5
	v_nop
	s_delay_alu instid0(TRANS32_DEP_1)
	v_readfirstlane_b32 s21, v1
	v_cmpx_gt_i32_e64 s6, v0
	s_cbranch_execz .LBB34_30
; %bb.1:
	s_mul_f32 s21, s21, 0x4f7ffffe
	s_xor_b32 s22, s3, s4
	s_sub_co_i32 s23, 0, s30
	s_ashr_i32 s22, s22, 31
	s_cvt_u32_f32 s21, s21
	s_xor_b32 s20, s20, s22
	s_mov_b32 s35, s29
	s_sub_co_i32 s31, s20, s22
	s_mul_i32 s23, s23, s21
	s_abs_i32 s28, s31
	s_mul_hi_u32 s20, s21, s23
	s_ashr_i32 s38, s31, 31
	s_add_co_i32 s34, s21, s20
	s_mul_i32 s31, s31, s4
	s_mul_u64 s[34:35], s[28:29], s[34:35]
	s_load_b256 s[20:27], s[0:1], 0x0
	s_mul_i32 s33, s35, s30
	s_sub_co_i32 s34, s3, s31
	s_sub_co_i32 s28, s28, s33
	s_mul_i32 s33, s19, s7
	s_sub_co_i32 s3, s28, s30
	s_cmp_ge_u32 s28, s30
	s_mov_b32 s36, s4
	s_cselect_b32 s3, s3, s28
	s_mov_b32 s46, s17
	s_sub_co_i32 s19, s3, s30
	s_cmp_ge_u32 s3, s30
	s_mov_b32 s30, s5
	s_cselect_b32 s3, s19, s3
	s_ashr_i32 s37, s4, 31
	s_xor_b32 s4, s3, s38
	s_ashr_i32 s31, s5, 31
	s_sub_co_i32 s44, s4, s38
	s_ashr_i32 s3, s2, 31
	s_ashr_i32 s45, s44, 31
	;; [unrolled: 1-line block ×3, first 2 shown]
	s_mul_u64 s[36:37], s[44:45], s[36:37]
	s_mul_u64 s[38:39], s[2:3], s[30:31]
	s_add_nc_u64 s[36:37], s[36:37], s[34:35]
	s_wait_kmcnt 0x0
	v_cmp_neq_f64_e64 s28, s[24:25], 1.0
	s_mul_u64 s[36:37], s[38:39], s[36:37]
	v_cmp_neq_f64_e64 s38, s[26:27], 0
	s_ashr_i32 s5, s9, 31
	s_ashr_i32 s31, s10, 31
	;; [unrolled: 1-line block ×3, first 2 shown]
	s_lshl_b64 s[36:37], s[36:37], 1
	s_cmp_lt_i32 s17, 1
	s_mov_b32 s30, s10
	s_cselect_b32 s55, -1, 0
	s_add_co_i32 s15, s34, s15
	s_cmp_gt_i32 s18, 0
	s_clause 0x1
	s_load_b64 s[34:35], s[0:1], 0x20
	s_load_b32 s39, s[0:1], 0xec
	s_cselect_b32 s56, -1, 0
	s_cmp_gt_i32 s7, 0
	s_add_nc_u64 s[20:21], s[20:21], s[36:37]
	s_cselect_b32 s57, -1, 0
	s_abs_i32 s58, s2
	s_abs_i32 s59, s8
	s_cvt_f32_u32 s4, s58
	s_abs_i32 s60, s11
	s_abs_i32 s63, s12
	s_ashr_i32 s19, s18, 31
	v_rcp_iflag_f32_e32 v1, s4
	s_mov_b32 s4, s9
	s_cvt_f32_u32 s9, s59
	s_cvt_f32_u32 s37, s63
	s_ashr_i32 s47, s17, 31
	s_ashr_i32 s64, s11, 31
	v_rcp_iflag_f32_e32 v2, s9
	v_readfirstlane_b32 s10, v1
	s_ashr_i32 s9, s8, 31
	s_wait_kmcnt 0x0
	s_and_b32 s62, s39, 0xffff
	s_mul_u64 s[48:49], s[18:19], s[8:9]
	s_or_b32 s61, s28, s38
	s_cvt_f32_u32 s28, s60
	v_readfirstlane_b32 s36, v2
	s_mul_f32 s10, s10, 0x4f7ffffe
	v_rcp_iflag_f32_e32 v2, s37
	v_rcp_iflag_f32_e32 v1, s28
	s_sub_co_i32 s28, 0, s58
	s_cvt_u32_f32 s10, s10
	s_mul_f32 s36, s36, 0x4f7ffffe
	s_ashr_i32 s1, s7, 31
	s_mov_b32 s0, s7
	s_mul_i32 s28, s28, s10
	v_nop
	v_readfirstlane_b32 s37, v1
	s_cvt_u32_f32 s38, s36
	s_sub_co_i32 s36, 0, s59
	s_mul_hi_u32 s28, s10, s28
	v_readfirstlane_b32 s40, v2
	s_mul_i32 s39, s36, s38
	s_add_co_i32 s36, s10, s28
	s_mul_f32 s28, s37, 0x4f7ffffe
	s_mul_hi_u32 s10, s38, s39
	s_mul_u64 s[50:51], s[30:31], s[4:5]
	s_add_co_i32 s38, s38, s10
	s_cvt_u32_f32 s10, s28
	s_mul_f32 s28, s40, 0x4f7ffffe
	s_sub_co_i32 s40, 0, s60
	s_mul_u64 s[52:53], s[48:49], s[46:47]
	s_mul_i32 s40, s40, s10
	s_cvt_u32_f32 s28, s28
	s_mul_hi_u32 s11, s10, s40
	s_sub_co_i32 s40, 0, s63
	v_mov_b32_e32 v3, 0
	s_mul_i32 s40, s40, s28
	s_lshl_b64 s[42:43], s[0:1], 1
	s_mul_hi_u32 s40, s28, s40
	s_mul_u64 s[44:45], s[50:51], s[44:45]
	s_mul_u64 s[0:1], s[52:53], s[0:1]
	s_mov_b32 s37, s29
	s_mov_b32 s39, s29
	s_add_co_i32 s10, s10, s11
	s_mov_b32 s11, s29
	s_ashr_i32 s12, s12, 31
	s_add_co_i32 s40, s28, s40
	s_mov_b32 s41, s29
	s_lshl_b64 s[44:45], s[44:45], 1
	s_lshl_b64 s[46:47], s[0:1], 1
	;; [unrolled: 1-line block ×5, first 2 shown]
	s_mov_b32 s5, 0
	s_branch .LBB34_3
.LBB34_2:                               ;   in Loop: Header=BB34_3 Depth=1
	v_add_nc_u32_e32 v0, s62, v0
	s_delay_alu instid0(VALU_DEP_1)
	v_cmp_le_i32_e32 vcc_lo, s6, v0
	s_or_b32 s5, vcc_lo, s5
	s_wait_xcnt 0x0
	s_and_not1_b32 exec_lo, exec_lo, s5
	s_cbranch_execz .LBB34_30
.LBB34_3:                               ; =>This Loop Header: Depth=1
                                        ;     Child Loop BB34_8 Depth 2
                                        ;       Child Loop BB34_17 Depth 3
                                        ;         Child Loop BB34_24 Depth 4
	v_sub_nc_u32_e32 v1, 0, v0
	s_mov_b32 s0, -1
	s_delay_alu instid0(VALU_DEP_1) | instskip(NEXT) | instid1(VALU_DEP_1)
	v_max_i32_e32 v2, v0, v1
	v_mul_u64_e32 v[4:5], s[36:37], v[2:3]
	s_delay_alu instid0(VALU_DEP_1) | instskip(NEXT) | instid1(VALU_DEP_1)
	v_mul_lo_u32 v1, v5, s58
	v_sub_nc_u32_e32 v1, v2, v1
	v_add_nc_u32_e32 v2, 1, v5
	s_delay_alu instid0(VALU_DEP_2) | instskip(NEXT) | instid1(VALU_DEP_2)
	v_cmp_le_u32_e32 vcc_lo, s58, v1
	v_cndmask_b32_e32 v2, v5, v2, vcc_lo
	v_subrev_nc_u32_e32 v4, s58, v1
	v_ashrrev_i32_e32 v5, 31, v0
	s_delay_alu instid0(VALU_DEP_2) | instskip(NEXT) | instid1(VALU_DEP_1)
	v_dual_cndmask_b32 v1, v1, v4 :: v_dual_add_nc_u32 v4, 1, v2
	v_cmp_le_u32_e32 vcc_lo, s58, v1
	s_delay_alu instid0(VALU_DEP_2) | instskip(NEXT) | instid1(VALU_DEP_1)
	v_dual_cndmask_b32 v1, v2, v4, vcc_lo :: v_dual_bitop2_b32 v5, s3, v5 bitop3:0x14
	v_xor_b32_e32 v1, v1, v5
	s_delay_alu instid0(VALU_DEP_1) | instskip(NEXT) | instid1(VALU_DEP_1)
	v_sub_nc_u32_e32 v5, v1, v5
	v_mul_lo_u32 v1, v5, s2
	s_delay_alu instid0(VALU_DEP_1) | instskip(NEXT) | instid1(VALU_DEP_1)
	v_sub_nc_u32_e32 v10, v0, v1
	v_sub_nc_u32_e32 v1, 0, v10
	s_delay_alu instid0(VALU_DEP_1) | instskip(NEXT) | instid1(VALU_DEP_1)
	v_max_i32_e32 v2, v10, v1
	v_mul_u64_e32 v[6:7], s[38:39], v[2:3]
	s_delay_alu instid0(VALU_DEP_1) | instskip(NEXT) | instid1(VALU_DEP_1)
	v_mul_lo_u32 v1, v7, s59
	v_dual_sub_nc_u32 v1, v2, v1 :: v_dual_add_nc_u32 v2, 1, v7
	v_ashrrev_i32_e32 v11, 31, v10
	s_delay_alu instid0(VALU_DEP_2) | instskip(SKIP_1) | instid1(VALU_DEP_3)
	v_subrev_nc_u32_e32 v4, s59, v1
	v_cmp_le_u32_e32 vcc_lo, s59, v1
	v_dual_cndmask_b32 v2, v7, v2, vcc_lo :: v_dual_bitop2_b32 v6, s9, v11 bitop3:0x14
	s_delay_alu instid0(VALU_DEP_1) | instskip(NEXT) | instid1(VALU_DEP_1)
	v_dual_cndmask_b32 v1, v1, v4 :: v_dual_add_nc_u32 v4, 1, v2
	v_cmp_le_u32_e32 vcc_lo, s59, v1
	s_delay_alu instid0(VALU_DEP_2) | instskip(SKIP_1) | instid1(VALU_DEP_1)
	v_cndmask_b32_e32 v1, v2, v4, vcc_lo
	s_and_not1_b32 vcc_lo, exec_lo, s55
	v_xor_b32_e32 v1, v1, v6
	s_delay_alu instid0(VALU_DEP_1) | instskip(NEXT) | instid1(VALU_DEP_1)
	v_sub_nc_u32_e32 v4, v1, v6
	v_mul_lo_u32 v12, v4, s8
	v_ashrrev_i32_e32 v1, 31, v4
	s_delay_alu instid0(VALU_DEP_2) | instskip(NEXT) | instid1(VALU_DEP_1)
	v_sub_nc_u32_e32 v6, v10, v12
	v_ashrrev_i32_e32 v7, 31, v6
	s_cbranch_vccnz .LBB34_5
; %bb.4:                                ;   in Loop: Header=BB34_3 Depth=1
	s_mov_b32 s0, 0
.LBB34_5:                               ;   in Loop: Header=BB34_3 Depth=1
	v_mov_b64_e32 v[8:9], 0
	s_and_not1_b32 vcc_lo, exec_lo, s0
	s_cbranch_vccnz .LBB34_26
; %bb.6:                                ;   in Loop: Header=BB34_3 Depth=1
	v_lshlrev_b64_e32 v[8:9], 1, v[10:11]
	v_mad_nc_u64_u32 v[10:11], s42, v4, s[34:35]
	v_dual_ashrrev_i32 v13, 31, v12 :: v_dual_add_nc_u32 v20, s16, v5
	s_mov_b32 s19, 0
	s_delay_alu instid0(VALU_DEP_1) | instskip(NEXT) | instid1(VALU_DEP_4)
	v_lshlrev_b64_e32 v[12:13], 1, v[12:13]
	v_mad_nc_u64_u32 v[8:9], s46, v4, v[8:9]
	s_delay_alu instid0(VALU_DEP_1) | instskip(NEXT) | instid1(VALU_DEP_1)
	v_mad_u32 v2, s47, v4, v9
	v_mad_u32 v9, s46, v1, v2
	v_mad_u32 v2, s43, v4, v11
	s_delay_alu instid0(VALU_DEP_2) | instskip(NEXT) | instid1(VALU_DEP_2)
	v_sub_nc_u64_e32 v[8:9], v[8:9], v[12:13]
	v_mad_u32 v11, s42, v1, v2
	s_delay_alu instid0(VALU_DEP_2)
	v_add_nc_u64_e32 v[12:13], s[22:23], v[8:9]
	v_mov_b64_e32 v[8:9], 0
	s_branch .LBB34_8
.LBB34_7:                               ;   in Loop: Header=BB34_8 Depth=2
	v_add_nc_u64_e32 v[12:13], s[48:49], v[12:13]
	s_add_co_i32 s19, s19, 1
	s_delay_alu instid0(SALU_CYCLE_1)
	s_cmp_eq_u32 s19, s17
	s_cbranch_scc1 .LBB34_26
.LBB34_8:                               ;   Parent Loop BB34_3 Depth=1
                                        ; =>  This Loop Header: Depth=2
                                        ;       Child Loop BB34_17 Depth 3
                                        ;         Child Loop BB34_24 Depth 4
	s_mul_i32 s0, s13, s19
	s_mov_b32 s68, -1
	s_sub_co_i32 s66, s15, s0
	s_mov_b32 s67, 0
	s_cmp_gt_i32 s66, -1
                                        ; implicit-def: $sgpr28
                                        ; implicit-def: $sgpr1
                                        ; implicit-def: $sgpr0
                                        ; implicit-def: $sgpr65
	s_cbranch_scc1 .LBB34_12
; %bb.9:                                ;   in Loop: Header=BB34_8 Depth=2
	s_and_not1_b32 vcc_lo, exec_lo, s68
	s_cbranch_vccz .LBB34_13
.LBB34_10:                              ;   in Loop: Header=BB34_8 Depth=2
	s_and_not1_b32 vcc_lo, exec_lo, s67
	s_mov_b32 s66, 1
	s_cbranch_vccz .LBB34_14
; %bb.11:                               ;   in Loop: Header=BB34_8 Depth=2
	s_and_not1_b32 vcc_lo, exec_lo, s56
	s_cbranch_vccz .LBB34_15
	s_branch .LBB34_7
.LBB34_12:                              ;   in Loop: Header=BB34_8 Depth=2
	s_abs_i32 s28, s66
	s_delay_alu instid0(SALU_CYCLE_1) | instskip(NEXT) | instid1(SALU_CYCLE_1)
	s_mul_u64 s[0:1], s[28:29], s[10:11]
	s_mul_i32 s0, s1, s60
	s_delay_alu instid0(SALU_CYCLE_1) | instskip(SKIP_4) | instid1(SALU_CYCLE_1)
	s_sub_co_i32 s0, s28, s0
	s_ashr_i32 s28, s66, 31
	s_sub_co_i32 s65, s0, s60
	s_cmp_ge_u32 s0, s60
	s_cselect_b32 s67, s65, s0
	s_sub_co_i32 s68, s67, s60
	s_cmp_ge_u32 s67, s60
	s_cselect_b32 s67, s68, s67
	s_delay_alu instid0(SALU_CYCLE_1) | instskip(NEXT) | instid1(SALU_CYCLE_1)
	s_xor_b32 s67, s67, s28
	s_sub_co_i32 s67, s67, s28
	s_delay_alu instid0(SALU_CYCLE_1)
	s_cmp_lg_u32 s67, 0
	s_cselect_b32 s67, -1, 0
	s_cbranch_execnz .LBB34_10
.LBB34_13:                              ;   in Loop: Header=BB34_8 Depth=2
	s_abs_i32 s28, s66
	s_delay_alu instid0(SALU_CYCLE_1) | instskip(NEXT) | instid1(SALU_CYCLE_1)
	s_mul_u64 s[0:1], s[28:29], s[10:11]
	s_mul_i32 s0, s1, s60
	s_delay_alu instid0(SALU_CYCLE_1)
	s_sub_co_i32 s0, s28, s0
	s_ashr_i32 s28, s66, 31
	s_sub_co_i32 s65, s0, s60
	s_mov_b32 s66, 1
.LBB34_14:                              ;   in Loop: Header=BB34_8 Depth=2
	s_mov_b32 s66, 0
	s_and_not1_b32 vcc_lo, exec_lo, s56
	s_cbranch_vccnz .LBB34_7
.LBB34_15:                              ;   in Loop: Header=BB34_8 Depth=2
	s_xor_b32 s28, s28, s64
	s_add_co_i32 s67, s1, 1
	s_cmp_ge_u32 s0, s60
	v_mov_b64_e32 v[14:15], v[12:13]
	s_cselect_b32 s1, s67, s1
	s_cselect_b32 s0, s65, s0
	s_add_co_i32 s65, s1, 1
	s_cmp_ge_u32 s0, s60
	s_cselect_b32 s0, s65, s1
	s_mov_b32 s65, 0
	s_xor_b32 s0, s0, s28
	s_delay_alu instid0(SALU_CYCLE_1) | instskip(NEXT) | instid1(SALU_CYCLE_1)
	s_sub_co_i32 s0, s0, s28
	s_cmp_lt_i32 s0, s4
	s_cselect_b32 s28, s66, 0
	s_ashr_i32 s1, s0, 31
	s_delay_alu instid0(SALU_CYCLE_1)
	s_mul_u64 s[0:1], s[0:1], s[30:31]
	s_branch .LBB34_17
.LBB34_16:                              ;   in Loop: Header=BB34_17 Depth=3
	v_add_nc_u64_e32 v[14:15], s[50:51], v[14:15]
	s_add_co_i32 s65, s65, 1
	s_delay_alu instid0(SALU_CYCLE_1)
	s_cmp_eq_u32 s65, s18
	s_cbranch_scc1 .LBB34_7
.LBB34_17:                              ;   Parent Loop BB34_3 Depth=1
                                        ;     Parent Loop BB34_8 Depth=2
                                        ; =>    This Loop Header: Depth=3
                                        ;         Child Loop BB34_24 Depth 4
	s_mul_i32 s66, s14, s65
	s_delay_alu instid0(SALU_CYCLE_1) | instskip(NEXT) | instid1(VALU_DEP_1)
	v_subrev_nc_u32_e32 v2, s66, v20
	v_dual_sub_nc_u32 v17, 0, v2 :: v_dual_ashrrev_i32 v16, 31, v2
	v_cmp_gt_i32_e64 s66, 0, v2
	v_cmp_lt_i32_e32 vcc_lo, -1, v2
	s_delay_alu instid0(VALU_DEP_3)
	v_max_i32_e32 v2, v2, v17
	s_and_saveexec_b32 s67, vcc_lo
	s_cbranch_execnz .LBB34_20
; %bb.18:                               ;   in Loop: Header=BB34_17 Depth=3
	s_or_b32 exec_lo, exec_lo, s67
	v_mov_b32_e32 v18, 1
	s_and_saveexec_b32 s67, s66
	s_cbranch_execnz .LBB34_21
.LBB34_19:                              ;   in Loop: Header=BB34_17 Depth=3
	s_or_b32 exec_lo, exec_lo, s67
	s_delay_alu instid0(SALU_CYCLE_1)
	s_and_not1_b32 vcc_lo, exec_lo, s57
	s_cbranch_vccz .LBB34_22
	s_branch .LBB34_16
.LBB34_20:                              ;   in Loop: Header=BB34_17 Depth=3
	s_delay_alu instid0(VALU_DEP_1) | instskip(SKIP_1) | instid1(VALU_DEP_1)
	v_mul_u64_e32 v[18:19], s[40:41], v[2:3]
	s_and_not1_b32 s66, s66, exec_lo
	v_mul_lo_u32 v17, v19, s63
	s_delay_alu instid0(VALU_DEP_1) | instskip(NEXT) | instid1(VALU_DEP_1)
	v_sub_nc_u32_e32 v17, v2, v17
	v_subrev_nc_u32_e32 v18, s63, v17
	v_cmp_le_u32_e32 vcc_lo, s63, v17
	s_delay_alu instid0(VALU_DEP_2) | instskip(NEXT) | instid1(VALU_DEP_1)
	v_cndmask_b32_e32 v17, v17, v18, vcc_lo
	v_subrev_nc_u32_e32 v18, s63, v17
	v_cmp_le_u32_e32 vcc_lo, s63, v17
	s_delay_alu instid0(VALU_DEP_2) | instskip(NEXT) | instid1(VALU_DEP_1)
	v_cndmask_b32_e32 v17, v17, v18, vcc_lo
	v_xor_b32_e32 v17, v17, v16
	s_delay_alu instid0(VALU_DEP_1) | instskip(NEXT) | instid1(VALU_DEP_1)
	v_sub_nc_u32_e32 v17, v17, v16
	v_cmp_ne_u32_e32 vcc_lo, 0, v17
	s_and_b32 s68, vcc_lo, exec_lo
	s_delay_alu instid0(SALU_CYCLE_1)
	s_or_b32 s66, s66, s68
	s_or_b32 exec_lo, exec_lo, s67
	v_mov_b32_e32 v18, 1
	s_and_saveexec_b32 s67, s66
	s_cbranch_execz .LBB34_19
.LBB34_21:                              ;   in Loop: Header=BB34_17 Depth=3
	v_mov_b32_e32 v18, 0
	s_or_b32 exec_lo, exec_lo, s67
	s_delay_alu instid0(SALU_CYCLE_1)
	s_and_not1_b32 vcc_lo, exec_lo, s57
	s_cbranch_vccnz .LBB34_16
.LBB34_22:                              ;   in Loop: Header=BB34_17 Depth=3
	v_mul_u64_e32 v[22:23], s[40:41], v[2:3]
	s_mov_b32 s66, s7
	v_xor_b32_e32 v16, s12, v16
	s_delay_alu instid0(VALU_DEP_2) | instskip(NEXT) | instid1(VALU_DEP_1)
	v_mul_lo_u32 v17, v23, s63
	v_dual_sub_nc_u32 v2, v2, v17 :: v_dual_add_nc_u32 v17, 1, v23
	s_delay_alu instid0(VALU_DEP_1) | instskip(SKIP_1) | instid1(VALU_DEP_2)
	v_subrev_nc_u32_e32 v19, s63, v2
	v_cmp_le_u32_e32 vcc_lo, s63, v2
	v_dual_cndmask_b32 v17, v23, v17 :: v_dual_cndmask_b32 v2, v2, v19
	s_delay_alu instid0(VALU_DEP_1) | instskip(NEXT) | instid1(VALU_DEP_2)
	v_add_nc_u32_e32 v19, 1, v17
	v_cmp_le_u32_e32 vcc_lo, s63, v2
	s_delay_alu instid0(VALU_DEP_2) | instskip(NEXT) | instid1(VALU_DEP_1)
	v_cndmask_b32_e32 v2, v17, v19, vcc_lo
	v_xor_b32_e32 v2, v2, v16
	s_delay_alu instid0(VALU_DEP_1) | instskip(NEXT) | instid1(VALU_DEP_1)
	v_sub_nc_u32_e32 v22, v2, v16
	v_cmp_gt_i32_e32 vcc_lo, s30, v22
	v_cndmask_b32_e32 v2, 0, v18, vcc_lo
	v_ashrrev_i32_e32 v23, 31, v22
	v_mov_b64_e32 v[18:19], v[14:15]
	s_delay_alu instid0(VALU_DEP_3) | instskip(NEXT) | instid1(VALU_DEP_3)
	v_and_b32_e32 v2, s28, v2
	v_add_nc_u64_e32 v[16:17], s[0:1], v[22:23]
	s_delay_alu instid0(VALU_DEP_2) | instskip(NEXT) | instid1(VALU_DEP_2)
	v_and_b32_e32 v2, 1, v2
	v_lshl_add_u64 v[24:25], v[16:17], 1, s[44:45]
	s_delay_alu instid0(VALU_DEP_2) | instskip(NEXT) | instid1(VALU_DEP_2)
	v_cmp_eq_u32_e32 vcc_lo, 1, v2
	v_mad_nc_u64_u32 v[16:17], s33, v24, v[10:11]
	s_delay_alu instid0(VALU_DEP_1) | instskip(NEXT) | instid1(VALU_DEP_1)
	v_mad_u32 v17, s54, v24, v17
	v_mad_u32 v17, s33, v25, v17
	s_branch .LBB34_24
.LBB34_23:                              ;   in Loop: Header=BB34_24 Depth=4
	s_wait_xcnt 0x0
	s_or_b32 exec_lo, exec_lo, s67
	s_delay_alu instid0(VALU_DEP_1) | instskip(SKIP_2) | instid1(SALU_CYCLE_1)
	v_add_nc_u64_e32 v[16:17], 2, v[16:17]
	v_add_nc_u64_e32 v[18:19], s[52:53], v[18:19]
	s_add_co_i32 s66, s66, -1
	s_cmp_eq_u32 s66, 0
	s_cbranch_scc1 .LBB34_16
.LBB34_24:                              ;   Parent Loop BB34_3 Depth=1
                                        ;     Parent Loop BB34_8 Depth=2
                                        ;       Parent Loop BB34_17 Depth=3
                                        ; =>      This Inner Loop Header: Depth=4
	s_and_saveexec_b32 s67, vcc_lo
	s_cbranch_execz .LBB34_23
; %bb.25:                               ;   in Loop: Header=BB34_24 Depth=4
	global_load_u16 v2, v[18:19], off
	global_load_u16 v21, v[16:17], off
	s_wait_loadcnt 0x0
	v_dual_lshlrev_b32 v2, 16, v2 :: v_dual_lshlrev_b32 v21, 16, v21
	s_delay_alu instid0(VALU_DEP_1) | instskip(NEXT) | instid1(VALU_DEP_2)
	v_cvt_f64_f32_e32 v[22:23], v2
	v_cvt_f64_f32_e32 v[24:25], v21
	s_delay_alu instid0(VALU_DEP_1)
	v_fmac_f64_e32 v[8:9], v[24:25], v[22:23]
	s_branch .LBB34_23
.LBB34_26:                              ;   in Loop: Header=BB34_3 Depth=1
	v_mad_nc_i64_i32 v[6:7], v5, s2, v[6:7]
	s_and_b32 vcc_lo, exec_lo, s61
	s_mov_b32 s0, -1
	s_delay_alu instid0(VALU_DEP_1) | instskip(NEXT) | instid1(VALU_DEP_1)
	v_mad_nc_u64_u32 v[6:7], v4, s8, v[6:7]
	v_mad_u32 v1, v1, s8, v7
	s_delay_alu instid0(VALU_DEP_1) | instskip(NEXT) | instid1(VALU_DEP_1)
	v_mad_u32 v7, v4, s9, v1
	v_lshl_add_u64 v[4:5], v[6:7], 1, s[20:21]
	s_cbranch_vccz .LBB34_28
; %bb.27:                               ;   in Loop: Header=BB34_3 Depth=1
	global_load_u16 v1, v[4:5], off
	s_wait_loadcnt 0x0
	v_lshlrev_b32_e32 v1, 16, v1
	s_delay_alu instid0(VALU_DEP_1) | instskip(NEXT) | instid1(VALU_DEP_1)
	v_cvt_f64_f32_e32 v[6:7], v1
	v_mul_f64_e32 v[6:7], s[26:27], v[6:7]
	s_delay_alu instid0(VALU_DEP_1) | instskip(NEXT) | instid1(VALU_DEP_1)
	v_fmac_f64_e32 v[6:7], s[24:25], v[8:9]
	v_cvt_f32_f64_e32 v1, v[6:7]
	s_delay_alu instid0(VALU_DEP_1) | instskip(SKIP_2) | instid1(VALU_DEP_3)
	v_and_b32_e32 v2, 0x7f800000, v1
	v_and_b32_e32 v6, 0xffff, v1
	v_lshrrev_b32_e32 v1, 16, v1
	v_cmp_eq_u32_e32 vcc_lo, 0x7f800000, v2
	s_delay_alu instid0(VALU_DEP_3) | instskip(SKIP_1) | instid1(SALU_CYCLE_1)
	v_cmp_ne_u32_e64 s0, 0, v6
	s_and_b32 s0, vcc_lo, s0
	v_cndmask_b32_e64 v2, 0, 1, s0
	s_mov_b32 s0, 0
	s_delay_alu instid0(VALU_DEP_1)
	v_or_b32_e32 v1, v1, v2
	global_store_b16 v[4:5], v1, off
.LBB34_28:                              ;   in Loop: Header=BB34_3 Depth=1
	s_and_not1_b32 vcc_lo, exec_lo, s0
	s_cbranch_vccnz .LBB34_2
; %bb.29:                               ;   in Loop: Header=BB34_3 Depth=1
	s_wait_xcnt 0x0
	v_cvt_f32_f64_e32 v1, v[8:9]
	s_delay_alu instid0(VALU_DEP_1) | instskip(SKIP_2) | instid1(VALU_DEP_3)
	v_and_b32_e32 v2, 0x7f800000, v1
	v_and_b32_e32 v6, 0xffff, v1
	v_lshrrev_b32_e32 v1, 16, v1
	v_cmp_eq_u32_e32 vcc_lo, 0x7f800000, v2
	s_delay_alu instid0(VALU_DEP_3) | instskip(SKIP_1) | instid1(SALU_CYCLE_1)
	v_cmp_ne_u32_e64 s0, 0, v6
	s_and_b32 s0, vcc_lo, s0
	v_cndmask_b32_e64 v2, 0, 1, s0
	s_delay_alu instid0(VALU_DEP_1)
	v_or_b32_e32 v1, v1, v2
	global_store_b16 v[4:5], v1, off
	s_branch .LBB34_2
.LBB34_30:
	s_endpgm
	.section	.rodata,"a",@progbits
	.p2align	6, 0x0
	.amdhsa_kernel naive_conv_ab_packed_bwd_nhwc_ushort_double_ushort
		.amdhsa_group_segment_fixed_size 0
		.amdhsa_private_segment_fixed_size 0
		.amdhsa_kernarg_size 480
		.amdhsa_user_sgpr_count 2
		.amdhsa_user_sgpr_dispatch_ptr 0
		.amdhsa_user_sgpr_queue_ptr 0
		.amdhsa_user_sgpr_kernarg_segment_ptr 1
		.amdhsa_user_sgpr_dispatch_id 0
		.amdhsa_user_sgpr_kernarg_preload_length 0
		.amdhsa_user_sgpr_kernarg_preload_offset 0
		.amdhsa_user_sgpr_private_segment_size 0
		.amdhsa_wavefront_size32 1
		.amdhsa_uses_dynamic_stack 0
		.amdhsa_enable_private_segment 0
		.amdhsa_system_sgpr_workgroup_id_x 1
		.amdhsa_system_sgpr_workgroup_id_y 0
		.amdhsa_system_sgpr_workgroup_id_z 0
		.amdhsa_system_sgpr_workgroup_info 0
		.amdhsa_system_vgpr_workitem_id 0
		.amdhsa_next_free_vgpr 26
		.amdhsa_next_free_sgpr 69
		.amdhsa_named_barrier_count 0
		.amdhsa_reserve_vcc 1
		.amdhsa_float_round_mode_32 0
		.amdhsa_float_round_mode_16_64 0
		.amdhsa_float_denorm_mode_32 3
		.amdhsa_float_denorm_mode_16_64 3
		.amdhsa_fp16_overflow 0
		.amdhsa_memory_ordered 1
		.amdhsa_forward_progress 1
		.amdhsa_inst_pref_size 18
		.amdhsa_round_robin_scheduling 0
		.amdhsa_exception_fp_ieee_invalid_op 0
		.amdhsa_exception_fp_denorm_src 0
		.amdhsa_exception_fp_ieee_div_zero 0
		.amdhsa_exception_fp_ieee_overflow 0
		.amdhsa_exception_fp_ieee_underflow 0
		.amdhsa_exception_fp_ieee_inexact 0
		.amdhsa_exception_int_div_zero 0
	.end_amdhsa_kernel
	.text
.Lfunc_end34:
	.size	naive_conv_ab_packed_bwd_nhwc_ushort_double_ushort, .Lfunc_end34-naive_conv_ab_packed_bwd_nhwc_ushort_double_ushort
                                        ; -- End function
	.set naive_conv_ab_packed_bwd_nhwc_ushort_double_ushort.num_vgpr, 26
	.set naive_conv_ab_packed_bwd_nhwc_ushort_double_ushort.num_agpr, 0
	.set naive_conv_ab_packed_bwd_nhwc_ushort_double_ushort.numbered_sgpr, 69
	.set naive_conv_ab_packed_bwd_nhwc_ushort_double_ushort.num_named_barrier, 0
	.set naive_conv_ab_packed_bwd_nhwc_ushort_double_ushort.private_seg_size, 0
	.set naive_conv_ab_packed_bwd_nhwc_ushort_double_ushort.uses_vcc, 1
	.set naive_conv_ab_packed_bwd_nhwc_ushort_double_ushort.uses_flat_scratch, 0
	.set naive_conv_ab_packed_bwd_nhwc_ushort_double_ushort.has_dyn_sized_stack, 0
	.set naive_conv_ab_packed_bwd_nhwc_ushort_double_ushort.has_recursion, 0
	.set naive_conv_ab_packed_bwd_nhwc_ushort_double_ushort.has_indirect_call, 0
	.section	.AMDGPU.csdata,"",@progbits
; Kernel info:
; codeLenInByte = 2260
; TotalNumSgprs: 71
; NumVgprs: 26
; ScratchSize: 0
; MemoryBound: 0
; FloatMode: 240
; IeeeMode: 1
; LDSByteSize: 0 bytes/workgroup (compile time only)
; SGPRBlocks: 0
; VGPRBlocks: 1
; NumSGPRsForWavesPerEU: 71
; NumVGPRsForWavesPerEU: 26
; NamedBarCnt: 0
; Occupancy: 16
; WaveLimiterHint : 0
; COMPUTE_PGM_RSRC2:SCRATCH_EN: 0
; COMPUTE_PGM_RSRC2:USER_SGPR: 2
; COMPUTE_PGM_RSRC2:TRAP_HANDLER: 0
; COMPUTE_PGM_RSRC2:TGID_X_EN: 1
; COMPUTE_PGM_RSRC2:TGID_Y_EN: 0
; COMPUTE_PGM_RSRC2:TGID_Z_EN: 0
; COMPUTE_PGM_RSRC2:TIDIG_COMP_CNT: 0
	.text
	.protected	naive_conv_ab_nonpacked_bwd_nhwc_ushort_double_ushort ; -- Begin function naive_conv_ab_nonpacked_bwd_nhwc_ushort_double_ushort
	.globl	naive_conv_ab_nonpacked_bwd_nhwc_ushort_double_ushort
	.p2align	8
	.type	naive_conv_ab_nonpacked_bwd_nhwc_ushort_double_ushort,@function
naive_conv_ab_nonpacked_bwd_nhwc_ushort_double_ushort: ; @naive_conv_ab_nonpacked_bwd_nhwc_ushort_double_ushort
; %bb.0:
	s_load_b512 s[4:19], s[0:1], 0xa0
	s_bfe_u32 s2, ttmp6, 0x4000c
	s_and_b32 s3, ttmp6, 15
	s_add_co_i32 s2, s2, 1
	s_getreg_b32 s20, hwreg(HW_REG_IB_STS2, 6, 4)
	s_mul_i32 s2, ttmp9, s2
	s_delay_alu instid0(SALU_CYCLE_1) | instskip(SKIP_2) | instid1(SALU_CYCLE_1)
	s_add_co_i32 s3, s3, s2
	s_cmp_eq_u32 s20, 0
	s_cselect_b32 s28, ttmp9, s3
	s_abs_i32 s21, s28
	s_wait_kmcnt 0x0
	s_abs_i32 s2, s4
	s_delay_alu instid0(SALU_CYCLE_1) | instskip(SKIP_1) | instid1(SALU_CYCLE_2)
	s_cvt_f32_u32 s3, s2
	s_sub_co_i32 s20, 0, s2
	v_rcp_iflag_f32_e32 v1, s3
	v_nop
	s_delay_alu instid0(TRANS32_DEP_1) | instskip(SKIP_1) | instid1(SALU_CYCLE_3)
	v_readfirstlane_b32 s3, v1
	s_mul_f32 s3, s3, 0x4f7ffffe
	s_cvt_u32_f32 s3, s3
	s_delay_alu instid0(SALU_CYCLE_3) | instskip(NEXT) | instid1(SALU_CYCLE_1)
	s_mul_i32 s20, s20, s3
	s_mul_hi_u32 s20, s3, s20
	s_delay_alu instid0(SALU_CYCLE_1) | instskip(NEXT) | instid1(SALU_CYCLE_1)
	s_add_co_i32 s3, s3, s20
	s_mul_hi_u32 s3, s21, s3
	s_delay_alu instid0(SALU_CYCLE_1) | instskip(NEXT) | instid1(SALU_CYCLE_1)
	s_mul_i32 s20, s3, s2
	s_sub_co_i32 s20, s21, s20
	s_add_co_i32 s21, s3, 1
	s_sub_co_i32 s22, s20, s2
	s_cmp_ge_u32 s20, s2
	s_cselect_b32 s3, s21, s3
	s_cselect_b32 s20, s22, s20
	s_add_co_i32 s21, s3, 1
	s_cmp_ge_u32 s20, s2
	s_mov_b32 s20, exec_lo
	s_cselect_b32 s2, s21, s3
	s_abs_i32 s29, s6
	s_mul_i32 s6, s19, s8
	s_cvt_f32_u32 s3, s29
	s_mul_i32 s19, s6, s5
	s_delay_alu instid0(SALU_CYCLE_2) | instskip(SKIP_2) | instid1(TRANS32_DEP_1)
	v_rcp_iflag_f32_e32 v1, s3
	s_mov_b32 s3, 0
	v_nop
	v_readfirstlane_b32 s5, v1
	v_cmpx_gt_i32_e64 s19, v0
	s_cbranch_execz .LBB35_30
; %bb.1:
	s_mul_f32 s5, s5, 0x4f7ffffe
	s_xor_b32 s30, s28, s4
	s_sub_co_i32 s33, 0, s29
	s_ashr_i32 s30, s30, 31
	s_cvt_u32_f32 s5, s5
	s_xor_b32 s2, s2, s30
	s_mov_b32 s31, s3
	s_sub_co_i32 s34, s2, s30
	s_mul_i32 s33, s33, s5
	s_abs_i32 s2, s34
	s_mul_hi_u32 s30, s5, s33
	s_load_b512 s[36:51], s[0:1], 0x28
	s_add_co_i32 s30, s5, s30
	s_ashr_i32 s5, s34, 31
	s_mul_u64 s[30:31], s[2:3], s[30:31]
	s_mul_i32 s34, s34, s4
	s_mul_i32 s30, s31, s29
	s_load_b256 s[20:27], s[0:1], 0x0
	s_sub_co_i32 s2, s2, s30
	s_sub_co_i32 s4, s28, s34
	;; [unrolled: 1-line block ×3, first 2 shown]
	s_cmp_ge_u32 s2, s29
	s_load_b32 s66, s[0:1], 0xec
	s_cselect_b32 s2, s28, s2
	s_load_b64 s[72:73], s[0:1], 0x20
	s_sub_co_i32 s28, s2, s29
	s_cmp_ge_u32 s2, s29
	s_load_b256 s[52:59], s[0:1], 0x68
	s_cselect_b32 s2, s28, s2
	v_mov_b32_e32 v3, 0
	s_xor_b32 s2, s2, s5
	s_delay_alu instid0(SALU_CYCLE_1)
	s_sub_co_i32 s60, s2, s5
	s_ashr_i32 s5, s4, 31
	s_ashr_i32 s61, s60, 31
	s_wait_kmcnt 0x0
	s_mul_u64 s[28:29], s[42:43], s[4:5]
	s_mul_u64 s[30:31], s[44:45], s[60:61]
	s_lshl_b64 s[34:35], s[28:29], 1
	s_lshl_b64 s[42:43], s[30:31], 1
	s_cmp_lt_i32 s17, 1
	v_cmp_neq_f64_e64 s70, s[24:25], 1.0
	v_cmp_neq_f64_e64 s2, s[26:27], 0
	s_cselect_b32 s33, -1, 0
	s_add_co_i32 s15, s4, s15
	s_cmp_gt_i32 s18, 0
	s_add_nc_u64 s[4:5], s[20:21], s[42:43]
	s_cselect_b32 s62, -1, 0
	s_cmp_gt_i32 s7, 0
	s_clause 0x1
	s_load_b64 s[74:75], s[0:1], 0x98
	s_load_b128 s[28:31], s[0:1], 0x88
	s_cselect_b32 s63, -1, 0
	s_abs_i32 s64, s6
	s_abs_i32 s65, s8
	s_cvt_f32_u32 s44, s64
	s_cvt_f32_u32 s20, s65
	s_abs_i32 s68, s11
	s_abs_i32 s69, s12
	v_rcp_iflag_f32_e32 v1, s44
	v_rcp_iflag_f32_e32 v2, s20
	s_cvt_f32_u32 s20, s68
	s_add_nc_u64 s[4:5], s[4:5], s[34:35]
	s_cvt_f32_u32 s35, s69
	s_wait_xcnt 0x0
	s_sub_co_i32 s1, 0, s64
	s_sub_co_i32 s34, 0, s65
	v_readfirstlane_b32 s0, v1
	v_readfirstlane_b32 s21, v2
	v_rcp_iflag_f32_e32 v1, s20
	v_rcp_iflag_f32_e32 v2, s35
	s_sub_co_i32 s43, 0, s69
	s_mul_f32 s0, s0, 0x4f7ffffe
	s_mul_f32 s20, s21, 0x4f7ffffe
	s_and_b32 s66, s66, 0xffff
	s_ashr_i32 s67, s6, 31
	s_cvt_u32_f32 s0, s0
	v_nop
	v_readfirstlane_b32 s35, v1
	s_or_b32 s70, s70, s2
	s_cvt_u32_f32 s2, s20
	s_mul_i32 s1, s1, s0
	v_readfirstlane_b32 s42, v2
	s_mul_hi_u32 s1, s0, s1
	s_mul_i32 s34, s34, s2
	s_add_co_i32 s20, s0, s1
	s_mul_f32 s1, s35, 0x4f7ffffe
	s_mul_hi_u32 s0, s2, s34
	s_mov_b32 s21, s3
	s_add_co_i32 s34, s2, s0
	s_cvt_u32_f32 s0, s1
	s_mul_f32 s1, s42, 0x4f7ffffe
	s_sub_co_i32 s2, 0, s68
	s_ashr_i32 s71, s8, 31
	s_mul_i32 s2, s2, s0
	s_cvt_u32_f32 s1, s1
	s_mul_hi_u32 s2, s0, s2
	s_mov_b32 s35, s3
	s_add_co_i32 s42, s0, s2
	s_mul_i32 s0, s43, s1
	s_ashr_i32 s11, s11, 31
	s_mul_hi_u32 s0, s1, s0
	s_mov_b32 s43, s3
	s_add_co_i32 s44, s1, s0
	s_wait_kmcnt 0x0
	s_mul_u64 s[0:1], s[74:75], s[60:61]
	s_ashr_i32 s12, s12, 31
	s_lshl_b64 s[0:1], s[0:1], 1
	s_mov_b32 s45, s3
	s_lshl_b64 s[46:47], s[46:47], 1
	s_lshl_b64 s[54:55], s[54:55], 1
	;; [unrolled: 1-line block ×5, first 2 shown]
	s_add_nc_u64 s[60:61], s[72:73], s[0:1]
	s_lshl_b64 s[58:59], s[58:59], 1
	s_lshl_b64 s[30:31], s[30:31], 1
	;; [unrolled: 1-line block ×4, first 2 shown]
	s_mov_b32 s72, 0
	s_branch .LBB35_3
.LBB35_2:                               ;   in Loop: Header=BB35_3 Depth=1
	v_add_nc_u32_e32 v0, s66, v0
	s_delay_alu instid0(VALU_DEP_1)
	v_cmp_le_i32_e32 vcc_lo, s19, v0
	s_or_b32 s72, vcc_lo, s72
	s_wait_xcnt 0x0
	s_and_not1_b32 exec_lo, exec_lo, s72
	s_cbranch_execz .LBB35_30
.LBB35_3:                               ; =>This Loop Header: Depth=1
                                        ;     Child Loop BB35_8 Depth 2
                                        ;       Child Loop BB35_17 Depth 3
                                        ;         Child Loop BB35_24 Depth 4
	v_sub_nc_u32_e32 v1, 0, v0
	s_mov_b32 s0, -1
	s_delay_alu instid0(VALU_DEP_1) | instskip(NEXT) | instid1(VALU_DEP_1)
	v_max_i32_e32 v2, v0, v1
	v_mul_u64_e32 v[4:5], s[20:21], v[2:3]
	s_delay_alu instid0(VALU_DEP_1) | instskip(NEXT) | instid1(VALU_DEP_1)
	v_mul_lo_u32 v1, v5, s64
	v_sub_nc_u32_e32 v1, v2, v1
	v_add_nc_u32_e32 v2, 1, v5
	s_delay_alu instid0(VALU_DEP_2) | instskip(NEXT) | instid1(VALU_DEP_2)
	v_cmp_le_u32_e32 vcc_lo, s64, v1
	v_cndmask_b32_e32 v2, v5, v2, vcc_lo
	v_subrev_nc_u32_e32 v4, s64, v1
	v_ashrrev_i32_e32 v5, 31, v0
	s_delay_alu instid0(VALU_DEP_2) | instskip(NEXT) | instid1(VALU_DEP_1)
	v_dual_cndmask_b32 v1, v1, v4 :: v_dual_add_nc_u32 v4, 1, v2
	v_cmp_le_u32_e32 vcc_lo, s64, v1
	s_delay_alu instid0(VALU_DEP_2) | instskip(NEXT) | instid1(VALU_DEP_1)
	v_dual_cndmask_b32 v1, v2, v4, vcc_lo :: v_dual_bitop2_b32 v5, s67, v5 bitop3:0x14
	v_xor_b32_e32 v1, v1, v5
	s_delay_alu instid0(VALU_DEP_1) | instskip(NEXT) | instid1(VALU_DEP_1)
	v_sub_nc_u32_e32 v4, v1, v5
	v_mul_lo_u32 v1, v4, s6
	s_delay_alu instid0(VALU_DEP_1) | instskip(NEXT) | instid1(VALU_DEP_1)
	v_sub_nc_u32_e32 v12, v0, v1
	v_sub_nc_u32_e32 v1, 0, v12
	s_delay_alu instid0(VALU_DEP_1) | instskip(NEXT) | instid1(VALU_DEP_1)
	v_max_i32_e32 v2, v12, v1
	v_mul_u64_e32 v[6:7], s[34:35], v[2:3]
	s_delay_alu instid0(VALU_DEP_1) | instskip(NEXT) | instid1(VALU_DEP_1)
	v_mul_lo_u32 v1, v7, s65
	v_dual_sub_nc_u32 v1, v2, v1 :: v_dual_add_nc_u32 v2, 1, v7
	v_ashrrev_i32_e32 v13, 31, v12
	s_delay_alu instid0(VALU_DEP_2) | instskip(SKIP_1) | instid1(VALU_DEP_3)
	v_subrev_nc_u32_e32 v5, s65, v1
	v_cmp_le_u32_e32 vcc_lo, s65, v1
	v_dual_cndmask_b32 v2, v7, v2, vcc_lo :: v_dual_bitop2_b32 v6, s71, v13 bitop3:0x14
	s_delay_alu instid0(VALU_DEP_1) | instskip(NEXT) | instid1(VALU_DEP_1)
	v_dual_cndmask_b32 v1, v1, v5, vcc_lo :: v_dual_add_nc_u32 v5, 1, v2
	v_cmp_le_u32_e32 vcc_lo, s65, v1
	s_delay_alu instid0(VALU_DEP_2) | instskip(SKIP_1) | instid1(VALU_DEP_1)
	v_cndmask_b32_e32 v1, v2, v5, vcc_lo
	s_and_not1_b32 vcc_lo, exec_lo, s33
	v_xor_b32_e32 v1, v1, v6
	s_delay_alu instid0(VALU_DEP_1) | instskip(NEXT) | instid1(VALU_DEP_1)
	v_sub_nc_u32_e32 v6, v1, v6
	v_mul_lo_u32 v14, v6, s8
	s_delay_alu instid0(VALU_DEP_1) | instskip(NEXT) | instid1(VALU_DEP_1)
	v_sub_nc_u32_e32 v8, v12, v14
	v_dual_ashrrev_i32 v1, 31, v8 :: v_dual_ashrrev_i32 v7, 31, v6
	s_cbranch_vccnz .LBB35_5
; %bb.4:                                ;   in Loop: Header=BB35_3 Depth=1
	s_mov_b32 s0, 0
.LBB35_5:                               ;   in Loop: Header=BB35_3 Depth=1
	v_mov_b64_e32 v[10:11], 0
	s_and_not1_b32 vcc_lo, exec_lo, s0
	s_cbranch_vccnz .LBB35_26
; %bb.6:                                ;   in Loop: Header=BB35_3 Depth=1
	v_mul_u64_e32 v[10:11], s[54:55], v[6:7]
	v_ashrrev_i32_e32 v15, 31, v14
	s_mov_b32 s73, 0
	s_delay_alu instid0(VALU_DEP_1) | instskip(SKIP_1) | instid1(VALU_DEP_1)
	v_sub_nc_u64_e32 v[14:15], v[12:13], v[14:15]
	v_mad_nc_u64_u32 v[12:13], s58, v6, s[60:61]
	v_mad_u32 v5, s59, v6, v13
	s_delay_alu instid0(VALU_DEP_1) | instskip(SKIP_2) | instid1(VALU_DEP_1)
	v_mad_u32 v13, s58, v7, v5
	v_add_nc_u32_e32 v5, s16, v4
	v_mad_nc_u64_u32 v[10:11], s46, v14, v[10:11]
	v_mad_u32 v2, s47, v14, v11
	s_delay_alu instid0(VALU_DEP_1) | instskip(NEXT) | instid1(VALU_DEP_1)
	v_mad_u32 v11, s46, v15, v2
	v_add_nc_u64_e32 v[14:15], s[22:23], v[10:11]
	v_mov_b64_e32 v[10:11], 0
	s_branch .LBB35_8
.LBB35_7:                               ;   in Loop: Header=BB35_8 Depth=2
	v_add_nc_u64_e32 v[14:15], s[50:51], v[14:15]
	s_add_co_i32 s73, s73, 1
	s_delay_alu instid0(SALU_CYCLE_1)
	s_cmp_eq_u32 s73, s17
	s_cbranch_scc1 .LBB35_26
.LBB35_8:                               ;   Parent Loop BB35_3 Depth=1
                                        ; =>  This Loop Header: Depth=2
                                        ;       Child Loop BB35_17 Depth 3
                                        ;         Child Loop BB35_24 Depth 4
	s_mul_i32 s0, s13, s73
	s_mov_b32 s77, -1
	s_sub_co_i32 s75, s15, s0
	s_mov_b32 s76, 0
	s_cmp_gt_i32 s75, -1
                                        ; implicit-def: $sgpr2
                                        ; implicit-def: $sgpr1
                                        ; implicit-def: $sgpr0
                                        ; implicit-def: $sgpr74
	s_cbranch_scc1 .LBB35_12
; %bb.9:                                ;   in Loop: Header=BB35_8 Depth=2
	s_and_not1_b32 vcc_lo, exec_lo, s77
	s_cbranch_vccz .LBB35_13
.LBB35_10:                              ;   in Loop: Header=BB35_8 Depth=2
	s_and_not1_b32 vcc_lo, exec_lo, s76
	s_mov_b32 s75, 1
	s_cbranch_vccz .LBB35_14
; %bb.11:                               ;   in Loop: Header=BB35_8 Depth=2
	s_and_not1_b32 vcc_lo, exec_lo, s62
	s_cbranch_vccz .LBB35_15
	s_branch .LBB35_7
.LBB35_12:                              ;   in Loop: Header=BB35_8 Depth=2
	s_abs_i32 s2, s75
	s_delay_alu instid0(SALU_CYCLE_1) | instskip(NEXT) | instid1(SALU_CYCLE_1)
	s_mul_u64 s[0:1], s[2:3], s[42:43]
	s_mul_i32 s0, s1, s68
	s_delay_alu instid0(SALU_CYCLE_1) | instskip(SKIP_4) | instid1(SALU_CYCLE_1)
	s_sub_co_i32 s0, s2, s0
	s_ashr_i32 s2, s75, 31
	s_sub_co_i32 s74, s0, s68
	s_cmp_ge_u32 s0, s68
	s_cselect_b32 s76, s74, s0
	s_sub_co_i32 s77, s76, s68
	s_cmp_ge_u32 s76, s68
	s_cselect_b32 s76, s77, s76
	s_delay_alu instid0(SALU_CYCLE_1) | instskip(NEXT) | instid1(SALU_CYCLE_1)
	s_xor_b32 s76, s76, s2
	s_sub_co_i32 s76, s76, s2
	s_delay_alu instid0(SALU_CYCLE_1)
	s_cmp_lg_u32 s76, 0
	s_cselect_b32 s76, -1, 0
	s_cbranch_execnz .LBB35_10
.LBB35_13:                              ;   in Loop: Header=BB35_8 Depth=2
	s_abs_i32 s2, s75
	s_delay_alu instid0(SALU_CYCLE_1) | instskip(NEXT) | instid1(SALU_CYCLE_1)
	s_mul_u64 s[0:1], s[2:3], s[42:43]
	s_mul_i32 s0, s1, s68
	s_delay_alu instid0(SALU_CYCLE_1)
	s_sub_co_i32 s0, s2, s0
	s_ashr_i32 s2, s75, 31
	s_sub_co_i32 s74, s0, s68
	s_mov_b32 s75, 1
.LBB35_14:                              ;   in Loop: Header=BB35_8 Depth=2
	s_mov_b32 s75, 0
	s_and_not1_b32 vcc_lo, exec_lo, s62
	s_cbranch_vccnz .LBB35_7
.LBB35_15:                              ;   in Loop: Header=BB35_8 Depth=2
	s_xor_b32 s2, s2, s11
	s_add_co_i32 s76, s1, 1
	s_cmp_ge_u32 s0, s68
	v_mov_b64_e32 v[18:19], v[14:15]
	s_cselect_b32 s1, s76, s1
	s_cselect_b32 s0, s74, s0
	s_add_co_i32 s74, s1, 1
	s_cmp_ge_u32 s0, s68
	s_cselect_b32 s0, s74, s1
	s_delay_alu instid0(SALU_CYCLE_1) | instskip(NEXT) | instid1(SALU_CYCLE_1)
	s_xor_b32 s0, s0, s2
	s_sub_co_i32 s1, s0, s2
	s_delay_alu instid0(SALU_CYCLE_1)
	v_mad_nc_u64_u32 v[16:17], s30, s1, v[12:13]
	s_cmp_lt_i32 s1, s9
	s_cselect_b32 s0, s75, 0
	s_ashr_i32 s2, s1, 31
	s_mul_i32 s1, s31, s1
	s_mul_i32 s2, s30, s2
	s_delay_alu instid0(VALU_DEP_1) | instid1(SALU_CYCLE_1)
	v_add3_u32 v17, s2, s1, v17
	s_mov_b32 s1, 0
	s_branch .LBB35_17
.LBB35_16:                              ;   in Loop: Header=BB35_17 Depth=3
	v_add_nc_u64_e32 v[18:19], s[48:49], v[18:19]
	s_add_co_i32 s1, s1, 1
	s_delay_alu instid0(SALU_CYCLE_1)
	s_cmp_eq_u32 s1, s18
	s_cbranch_scc1 .LBB35_7
.LBB35_17:                              ;   Parent Loop BB35_3 Depth=1
                                        ;     Parent Loop BB35_8 Depth=2
                                        ; =>    This Loop Header: Depth=3
                                        ;         Child Loop BB35_24 Depth 4
	s_mul_i32 s2, s14, s1
	s_delay_alu instid0(SALU_CYCLE_1) | instskip(NEXT) | instid1(VALU_DEP_1)
	v_subrev_nc_u32_e32 v2, s2, v5
	v_dual_sub_nc_u32 v20, 0, v2 :: v_dual_ashrrev_i32 v9, 31, v2
	v_cmp_gt_i32_e64 s2, 0, v2
	v_cmp_lt_i32_e32 vcc_lo, -1, v2
	s_delay_alu instid0(VALU_DEP_3)
	v_max_i32_e32 v2, v2, v20
	s_and_saveexec_b32 s74, vcc_lo
	s_cbranch_execnz .LBB35_20
; %bb.18:                               ;   in Loop: Header=BB35_17 Depth=3
	s_or_b32 exec_lo, exec_lo, s74
	v_mov_b32_e32 v22, 1
	s_and_saveexec_b32 s74, s2
	s_cbranch_execnz .LBB35_21
.LBB35_19:                              ;   in Loop: Header=BB35_17 Depth=3
	s_or_b32 exec_lo, exec_lo, s74
	s_delay_alu instid0(SALU_CYCLE_1)
	s_and_not1_b32 vcc_lo, exec_lo, s63
	s_cbranch_vccz .LBB35_22
	s_branch .LBB35_16
.LBB35_20:                              ;   in Loop: Header=BB35_17 Depth=3
	s_delay_alu instid0(VALU_DEP_1) | instskip(SKIP_1) | instid1(VALU_DEP_1)
	v_mul_u64_e32 v[20:21], s[44:45], v[2:3]
	s_and_not1_b32 s2, s2, exec_lo
	v_mul_lo_u32 v20, v21, s69
	s_delay_alu instid0(VALU_DEP_1) | instskip(NEXT) | instid1(VALU_DEP_1)
	v_sub_nc_u32_e32 v20, v2, v20
	v_subrev_nc_u32_e32 v21, s69, v20
	v_cmp_le_u32_e32 vcc_lo, s69, v20
	s_delay_alu instid0(VALU_DEP_2) | instskip(NEXT) | instid1(VALU_DEP_1)
	v_cndmask_b32_e32 v20, v20, v21, vcc_lo
	v_subrev_nc_u32_e32 v21, s69, v20
	v_cmp_le_u32_e32 vcc_lo, s69, v20
	s_delay_alu instid0(VALU_DEP_2) | instskip(NEXT) | instid1(VALU_DEP_1)
	v_cndmask_b32_e32 v20, v20, v21, vcc_lo
	v_xor_b32_e32 v20, v20, v9
	s_delay_alu instid0(VALU_DEP_1) | instskip(NEXT) | instid1(VALU_DEP_1)
	v_sub_nc_u32_e32 v20, v20, v9
	v_cmp_ne_u32_e32 vcc_lo, 0, v20
	s_and_b32 s75, vcc_lo, exec_lo
	s_delay_alu instid0(SALU_CYCLE_1)
	s_or_b32 s2, s2, s75
	s_or_b32 exec_lo, exec_lo, s74
	v_mov_b32_e32 v22, 1
	s_and_saveexec_b32 s74, s2
	s_cbranch_execz .LBB35_19
.LBB35_21:                              ;   in Loop: Header=BB35_17 Depth=3
	v_mov_b32_e32 v22, 0
	s_or_b32 exec_lo, exec_lo, s74
	s_delay_alu instid0(SALU_CYCLE_1)
	s_and_not1_b32 vcc_lo, exec_lo, s63
	s_cbranch_vccnz .LBB35_16
.LBB35_22:                              ;   in Loop: Header=BB35_17 Depth=3
	v_mul_u64_e32 v[20:21], s[44:45], v[2:3]
	s_mov_b32 s2, s7
	v_xor_b32_e32 v9, s12, v9
	s_delay_alu instid0(VALU_DEP_2) | instskip(NEXT) | instid1(VALU_DEP_1)
	v_mul_lo_u32 v20, v21, s69
	v_dual_sub_nc_u32 v2, v2, v20 :: v_dual_add_nc_u32 v20, 1, v21
	s_delay_alu instid0(VALU_DEP_1) | instskip(SKIP_1) | instid1(VALU_DEP_2)
	v_subrev_nc_u32_e32 v23, s69, v2
	v_cmp_le_u32_e32 vcc_lo, s69, v2
	v_dual_cndmask_b32 v20, v21, v20, vcc_lo :: v_dual_cndmask_b32 v2, v2, v23, vcc_lo
	s_delay_alu instid0(VALU_DEP_1) | instskip(NEXT) | instid1(VALU_DEP_2)
	v_add_nc_u32_e32 v21, 1, v20
	v_cmp_le_u32_e32 vcc_lo, s69, v2
	s_delay_alu instid0(VALU_DEP_2) | instskip(NEXT) | instid1(VALU_DEP_1)
	v_cndmask_b32_e32 v2, v20, v21, vcc_lo
	v_xor_b32_e32 v2, v2, v9
	s_delay_alu instid0(VALU_DEP_1) | instskip(NEXT) | instid1(VALU_DEP_1)
	v_sub_nc_u32_e32 v2, v2, v9
	v_cmp_gt_i32_e32 vcc_lo, s10, v2
	v_cndmask_b32_e32 v9, 0, v22, vcc_lo
	v_mov_b64_e32 v[22:23], v[18:19]
	s_delay_alu instid0(VALU_DEP_2) | instskip(SKIP_1) | instid1(VALU_DEP_2)
	v_and_b32_e32 v9, s0, v9
	v_mad_nc_u64_u32 v[20:21], s28, v2, v[16:17]
	v_and_b32_e32 v9, 1, v9
	s_delay_alu instid0(VALU_DEP_1) | instskip(NEXT) | instid1(VALU_DEP_3)
	v_cmp_eq_u32_e32 vcc_lo, 1, v9
	v_mad_u32 v21, s29, v2, v21
	v_ashrrev_i32_e32 v2, 31, v2
	s_delay_alu instid0(VALU_DEP_1)
	v_mad_u32 v21, s28, v2, v21
	s_branch .LBB35_24
.LBB35_23:                              ;   in Loop: Header=BB35_24 Depth=4
	s_wait_xcnt 0x0
	s_or_b32 exec_lo, exec_lo, s74
	v_add_nc_u64_e32 v[22:23], s[52:53], v[22:23]
	s_delay_alu instid0(VALU_DEP_2) | instskip(SKIP_1) | instid1(SALU_CYCLE_1)
	v_add_nc_u64_e32 v[20:21], s[56:57], v[20:21]
	s_add_co_i32 s2, s2, -1
	s_cmp_eq_u32 s2, 0
	s_cbranch_scc1 .LBB35_16
.LBB35_24:                              ;   Parent Loop BB35_3 Depth=1
                                        ;     Parent Loop BB35_8 Depth=2
                                        ;       Parent Loop BB35_17 Depth=3
                                        ; =>      This Inner Loop Header: Depth=4
	s_and_saveexec_b32 s74, vcc_lo
	s_cbranch_execz .LBB35_23
; %bb.25:                               ;   in Loop: Header=BB35_24 Depth=4
	global_load_u16 v2, v[22:23], off
	global_load_u16 v9, v[20:21], off
	s_wait_loadcnt 0x0
	v_dual_lshlrev_b32 v2, 16, v2 :: v_dual_lshlrev_b32 v9, 16, v9
	s_delay_alu instid0(VALU_DEP_1) | instskip(NEXT) | instid1(VALU_DEP_2)
	v_cvt_f64_f32_e32 v[24:25], v2
	v_cvt_f64_f32_e32 v[26:27], v9
	s_delay_alu instid0(VALU_DEP_1)
	v_fmac_f64_e32 v[10:11], v[26:27], v[24:25]
	s_branch .LBB35_23
.LBB35_26:                              ;   in Loop: Header=BB35_3 Depth=1
	v_ashrrev_i32_e32 v5, 31, v4
	s_and_b32 vcc_lo, exec_lo, s70
	s_mov_b32 s0, -1
	s_delay_alu instid0(VALU_DEP_1) | instskip(NEXT) | instid1(VALU_DEP_1)
	v_mul_u64_e32 v[4:5], s[40:41], v[4:5]
	v_mad_nc_u64_u32 v[4:5], v8, s36, v[4:5]
	s_delay_alu instid0(VALU_DEP_1) | instskip(NEXT) | instid1(VALU_DEP_1)
	v_mad_u32 v1, v1, s36, v5
	v_mad_u32 v5, v8, s37, v1
	s_delay_alu instid0(VALU_DEP_1) | instskip(NEXT) | instid1(VALU_DEP_1)
	v_mad_nc_u64_u32 v[4:5], v6, s38, v[4:5]
	v_mad_u32 v1, v7, s38, v5
	s_delay_alu instid0(VALU_DEP_1) | instskip(NEXT) | instid1(VALU_DEP_1)
	v_mad_u32 v5, v6, s39, v1
	v_lshl_add_u64 v[4:5], v[4:5], 1, s[4:5]
	s_cbranch_vccz .LBB35_28
; %bb.27:                               ;   in Loop: Header=BB35_3 Depth=1
	global_load_u16 v1, v[4:5], off
	s_wait_loadcnt 0x0
	v_lshlrev_b32_e32 v1, 16, v1
	s_delay_alu instid0(VALU_DEP_1) | instskip(NEXT) | instid1(VALU_DEP_1)
	v_cvt_f64_f32_e32 v[6:7], v1
	v_mul_f64_e32 v[6:7], s[26:27], v[6:7]
	s_delay_alu instid0(VALU_DEP_1) | instskip(NEXT) | instid1(VALU_DEP_1)
	v_fmac_f64_e32 v[6:7], s[24:25], v[10:11]
	v_cvt_f32_f64_e32 v1, v[6:7]
	s_delay_alu instid0(VALU_DEP_1) | instskip(SKIP_2) | instid1(VALU_DEP_3)
	v_and_b32_e32 v2, 0x7f800000, v1
	v_and_b32_e32 v6, 0xffff, v1
	v_lshrrev_b32_e32 v1, 16, v1
	v_cmp_eq_u32_e32 vcc_lo, 0x7f800000, v2
	s_delay_alu instid0(VALU_DEP_3) | instskip(SKIP_1) | instid1(SALU_CYCLE_1)
	v_cmp_ne_u32_e64 s0, 0, v6
	s_and_b32 s0, vcc_lo, s0
	v_cndmask_b32_e64 v2, 0, 1, s0
	s_mov_b32 s0, 0
	s_delay_alu instid0(VALU_DEP_1)
	v_or_b32_e32 v1, v1, v2
	global_store_b16 v[4:5], v1, off
.LBB35_28:                              ;   in Loop: Header=BB35_3 Depth=1
	s_and_not1_b32 vcc_lo, exec_lo, s0
	s_cbranch_vccnz .LBB35_2
; %bb.29:                               ;   in Loop: Header=BB35_3 Depth=1
	s_wait_xcnt 0x0
	v_cvt_f32_f64_e32 v1, v[10:11]
	s_delay_alu instid0(VALU_DEP_1) | instskip(SKIP_2) | instid1(VALU_DEP_3)
	v_and_b32_e32 v2, 0x7f800000, v1
	v_and_b32_e32 v6, 0xffff, v1
	v_lshrrev_b32_e32 v1, 16, v1
	v_cmp_eq_u32_e32 vcc_lo, 0x7f800000, v2
	s_delay_alu instid0(VALU_DEP_3) | instskip(SKIP_1) | instid1(SALU_CYCLE_1)
	v_cmp_ne_u32_e64 s0, 0, v6
	s_and_b32 s0, vcc_lo, s0
	v_cndmask_b32_e64 v2, 0, 1, s0
	s_delay_alu instid0(VALU_DEP_1)
	v_or_b32_e32 v1, v1, v2
	global_store_b16 v[4:5], v1, off
	s_branch .LBB35_2
.LBB35_30:
	s_endpgm
	.section	.rodata,"a",@progbits
	.p2align	6, 0x0
	.amdhsa_kernel naive_conv_ab_nonpacked_bwd_nhwc_ushort_double_ushort
		.amdhsa_group_segment_fixed_size 0
		.amdhsa_private_segment_fixed_size 0
		.amdhsa_kernarg_size 480
		.amdhsa_user_sgpr_count 2
		.amdhsa_user_sgpr_dispatch_ptr 0
		.amdhsa_user_sgpr_queue_ptr 0
		.amdhsa_user_sgpr_kernarg_segment_ptr 1
		.amdhsa_user_sgpr_dispatch_id 0
		.amdhsa_user_sgpr_kernarg_preload_length 0
		.amdhsa_user_sgpr_kernarg_preload_offset 0
		.amdhsa_user_sgpr_private_segment_size 0
		.amdhsa_wavefront_size32 1
		.amdhsa_uses_dynamic_stack 0
		.amdhsa_enable_private_segment 0
		.amdhsa_system_sgpr_workgroup_id_x 1
		.amdhsa_system_sgpr_workgroup_id_y 0
		.amdhsa_system_sgpr_workgroup_id_z 0
		.amdhsa_system_sgpr_workgroup_info 0
		.amdhsa_system_vgpr_workitem_id 0
		.amdhsa_next_free_vgpr 28
		.amdhsa_next_free_sgpr 78
		.amdhsa_named_barrier_count 0
		.amdhsa_reserve_vcc 1
		.amdhsa_float_round_mode_32 0
		.amdhsa_float_round_mode_16_64 0
		.amdhsa_float_denorm_mode_32 3
		.amdhsa_float_denorm_mode_16_64 3
		.amdhsa_fp16_overflow 0
		.amdhsa_memory_ordered 1
		.amdhsa_forward_progress 1
		.amdhsa_inst_pref_size 18
		.amdhsa_round_robin_scheduling 0
		.amdhsa_exception_fp_ieee_invalid_op 0
		.amdhsa_exception_fp_denorm_src 0
		.amdhsa_exception_fp_ieee_div_zero 0
		.amdhsa_exception_fp_ieee_overflow 0
		.amdhsa_exception_fp_ieee_underflow 0
		.amdhsa_exception_fp_ieee_inexact 0
		.amdhsa_exception_int_div_zero 0
	.end_amdhsa_kernel
	.text
.Lfunc_end35:
	.size	naive_conv_ab_nonpacked_bwd_nhwc_ushort_double_ushort, .Lfunc_end35-naive_conv_ab_nonpacked_bwd_nhwc_ushort_double_ushort
                                        ; -- End function
	.set naive_conv_ab_nonpacked_bwd_nhwc_ushort_double_ushort.num_vgpr, 28
	.set naive_conv_ab_nonpacked_bwd_nhwc_ushort_double_ushort.num_agpr, 0
	.set naive_conv_ab_nonpacked_bwd_nhwc_ushort_double_ushort.numbered_sgpr, 78
	.set naive_conv_ab_nonpacked_bwd_nhwc_ushort_double_ushort.num_named_barrier, 0
	.set naive_conv_ab_nonpacked_bwd_nhwc_ushort_double_ushort.private_seg_size, 0
	.set naive_conv_ab_nonpacked_bwd_nhwc_ushort_double_ushort.uses_vcc, 1
	.set naive_conv_ab_nonpacked_bwd_nhwc_ushort_double_ushort.uses_flat_scratch, 0
	.set naive_conv_ab_nonpacked_bwd_nhwc_ushort_double_ushort.has_dyn_sized_stack, 0
	.set naive_conv_ab_nonpacked_bwd_nhwc_ushort_double_ushort.has_recursion, 0
	.set naive_conv_ab_nonpacked_bwd_nhwc_ushort_double_ushort.has_indirect_call, 0
	.section	.AMDGPU.csdata,"",@progbits
; Kernel info:
; codeLenInByte = 2280
; TotalNumSgprs: 80
; NumVgprs: 28
; ScratchSize: 0
; MemoryBound: 0
; FloatMode: 240
; IeeeMode: 1
; LDSByteSize: 0 bytes/workgroup (compile time only)
; SGPRBlocks: 0
; VGPRBlocks: 1
; NumSGPRsForWavesPerEU: 80
; NumVGPRsForWavesPerEU: 28
; NamedBarCnt: 0
; Occupancy: 16
; WaveLimiterHint : 0
; COMPUTE_PGM_RSRC2:SCRATCH_EN: 0
; COMPUTE_PGM_RSRC2:USER_SGPR: 2
; COMPUTE_PGM_RSRC2:TRAP_HANDLER: 0
; COMPUTE_PGM_RSRC2:TGID_X_EN: 1
; COMPUTE_PGM_RSRC2:TGID_Y_EN: 0
; COMPUTE_PGM_RSRC2:TGID_Z_EN: 0
; COMPUTE_PGM_RSRC2:TIDIG_COMP_CNT: 0
	.text
	.protected	naive_conv_ab_packed_wrw_nchw_float_double_float ; -- Begin function naive_conv_ab_packed_wrw_nchw_float_double_float
	.globl	naive_conv_ab_packed_wrw_nchw_float_double_float
	.p2align	8
	.type	naive_conv_ab_packed_wrw_nchw_float_double_float,@function
naive_conv_ab_packed_wrw_nchw_float_double_float: ; @naive_conv_ab_packed_wrw_nchw_float_double_float
; %bb.0:
	s_load_b512 s[4:19], s[0:1], 0xa0
	s_bfe_u32 s2, ttmp6, 0x4000c
	s_and_b32 s3, ttmp6, 15
	s_add_co_i32 s2, s2, 1
	s_getreg_b32 s20, hwreg(HW_REG_IB_STS2, 6, 4)
	s_mul_i32 s2, ttmp9, s2
	s_delay_alu instid0(SALU_CYCLE_1)
	s_add_co_i32 s3, s3, s2
	s_cmp_eq_u32 s20, 0
	s_mov_b32 s20, exec_lo
	s_cselect_b32 s34, ttmp9, s3
	s_mov_b32 s3, 0
	s_wait_kmcnt 0x0
	s_abs_i32 s29, s7
	s_mul_i32 s40, s18, s17
	s_cvt_f32_u32 s2, s29
	s_mul_i32 s33, s40, s8
	s_delay_alu instid0(SALU_CYCLE_2) | instskip(SKIP_1) | instid1(TRANS32_DEP_1)
	v_rcp_iflag_f32_e32 v1, s2
	v_nop
	v_readfirstlane_b32 s2, v1
	v_cmpx_gt_i32_e64 s33, v0
	s_cbranch_execz .LBB36_18
; %bb.1:
	s_mul_f32 s2, s2, 0x4f7ffffe
	s_mov_b32 s31, s3
	s_ashr_i32 s35, s34, 31
	s_ashr_i32 s37, s7, 31
	s_cvt_u32_f32 s28, s2
	s_sub_co_i32 s2, 0, s29
	s_xor_b32 s35, s35, s37
	s_load_b256 s[20:27], s[0:1], 0x0
	s_mul_i32 s30, s2, s28
	s_abs_i32 s2, s34
	s_mul_hi_u32 s30, s28, s30
	s_mov_b32 s38, s8
	s_add_co_i32 s30, s28, s30
	s_mov_b32 s28, s4
	s_mul_u64 s[30:31], s[2:3], s[30:31]
	s_clause 0x1
	s_load_b64 s[58:59], s[0:1], 0x20
	s_load_b32 s55, s[0:1], 0xec
	s_mul_i32 s30, s31, s29
	s_add_co_i32 s36, s31, 1
	s_sub_co_i32 s2, s2, s30
	s_mov_b32 s30, s5
	s_sub_co_i32 s39, s2, s29
	s_cmp_ge_u32 s2, s29
	s_mul_i32 s52, s19, s8
	s_cselect_b32 s31, s36, s31
	s_cselect_b32 s2, s39, s2
	s_add_co_i32 s39, s31, 1
	s_cmp_ge_u32 s2, s29
	s_mov_b32 s36, s7
	s_cselect_b32 s2, s39, s31
	s_ashr_i32 s29, s4, 31
	s_xor_b32 s2, s2, s35
	s_ashr_i32 s31, s5, 31
	s_sub_co_i32 s42, s2, s35
	s_ashr_i32 s39, s8, 31
	s_mul_u64 s[4:5], s[30:31], s[28:29]
	s_mul_i32 s2, s42, s7
	s_mul_u64 s[44:45], s[4:5], s[38:39]
	s_ashr_i32 s43, s42, 31
	s_sub_co_i32 s46, s34, s2
	s_ashr_i32 s5, s17, 31
	s_mov_b32 s4, s17
	s_mul_u64 s[36:37], s[42:43], s[36:37]
	s_ashr_i32 s35, s18, 31
	s_mov_b32 s34, s18
	s_ashr_i32 s47, s46, 31
	s_mul_u64 s[48:49], s[4:5], s[38:39]
	s_add_nc_u64 s[38:39], s[36:37], s[46:47]
	s_mul_u64 s[36:37], s[48:49], s[34:35]
	s_wait_kmcnt 0x0
	v_cmp_neq_f64_e64 s2, s[24:25], 1.0
	v_cmp_neq_f64_e64 s41, s[26:27], 0
	s_mul_u64 s[42:43], s[44:45], s[42:43]
	s_mul_u64 s[36:37], s[36:37], s[38:39]
	s_lshl_b64 s[44:45], s[42:43], 2
	s_lshl_b64 s[46:47], s[36:37], 2
	s_ashr_i32 s37, s9, 31
	s_ashr_i32 s43, s10, 31
	s_cmp_lt_i32 s6, 1
	s_mov_b32 s36, s9
	s_cselect_b32 s48, -1, 0
	s_cmp_gt_i32 s9, 0
	s_mov_b32 s42, s10
	s_cselect_b32 s49, -1, 0
	s_cmp_gt_i32 s10, 0
	s_add_nc_u64 s[20:21], s[20:21], s[44:45]
	s_cselect_b32 s50, -1, 0
	s_abs_i32 s51, s18
	s_abs_i32 s1, s17
	s_cvt_f32_u32 s18, s51
	s_cvt_f32_u32 s0, s1
	s_abs_i32 s53, s40
	s_mul_i32 s44, s19, s7
	v_rcp_iflag_f32_e32 v1, s18
	v_rcp_iflag_f32_e32 v2, s0
	s_cvt_f32_u32 s8, s53
	s_ashr_i32 s56, s40, 31
	s_ashr_i32 s45, s44, 31
	v_mov_b32_e32 v3, 0
	s_add_nc_u64 s[22:23], s[22:23], s[46:47]
	v_readfirstlane_b32 s0, v1
	v_rcp_iflag_f32_e32 v1, s8
	v_readfirstlane_b32 s9, v2
	s_or_b32 s54, s2, s41
	s_sub_co_i32 s8, 0, s51
	s_mul_f32 s0, s0, 0x4f7ffffe
	s_mul_u64 s[40:41], s[42:43], s[36:37]
	s_mul_f32 s2, s9, 0x4f7ffffe
	v_readfirstlane_b32 s9, v1
	s_cvt_u32_f32 s0, s0
	s_mul_u64 s[38:39], s[40:41], s[38:39]
	s_cvt_u32_f32 s17, s2
	s_lshl_b64 s[38:39], s[38:39], 2
	s_mul_i32 s8, s8, s0
	s_mul_f32 s9, s9, 0x4f7ffffe
	s_mul_hi_u32 s2, s0, s8
	s_sub_co_i32 s8, 0, s1
	s_add_co_i32 s2, s0, s2
	s_mul_i32 s8, s8, s17
	s_cvt_u32_f32 s18, s9
	s_mul_hi_u32 s0, s17, s8
	s_mul_u64 s[40:41], s[40:41], s[44:45]
	s_add_co_i32 s8, s17, s0
	s_sub_co_i32 s0, 0, s53
	s_ashr_i32 s7, s52, 31
	s_mul_i32 s0, s0, s18
	s_and_b32 s55, s55, 0xffff
	s_mul_hi_u32 s0, s18, s0
	s_mov_b32 s9, s3
	s_add_co_i32 s18, s18, s0
	s_mov_b32 s19, s3
	s_add_nc_u64 s[38:39], s[58:59], s[38:39]
	s_lshl_b64 s[40:41], s[40:41], 2
	s_lshl_b64 s[42:43], s[42:43], 2
	s_sub_co_i32 s37, 0, s16
	s_mov_b32 s57, s3
	s_branch .LBB36_3
.LBB36_2:                               ;   in Loop: Header=BB36_3 Depth=1
	s_delay_alu instid0(VALU_DEP_1) | instskip(SKIP_1) | instid1(VALU_DEP_1)
	v_cvt_f32_f64_e32 v1, v[6:7]
	v_add_nc_u32_e32 v0, s55, v0
	v_cmp_le_i32_e32 vcc_lo, s33, v0
	s_or_b32 s57, vcc_lo, s57
	global_store_b32 v[4:5], v1, off
	s_wait_xcnt 0x0
	s_and_not1_b32 exec_lo, exec_lo, s57
	s_cbranch_execz .LBB36_18
.LBB36_3:                               ; =>This Loop Header: Depth=1
                                        ;     Child Loop BB36_8 Depth 2
                                        ;       Child Loop BB36_11 Depth 3
                                        ;         Child Loop BB36_14 Depth 4
	v_sub_nc_u32_e32 v1, 0, v0
	s_mov_b32 s16, -1
	v_dual_mov_b32 v7, v3 :: v_dual_ashrrev_i32 v10, 31, v0
	s_delay_alu instid0(VALU_DEP_2) | instskip(NEXT) | instid1(VALU_DEP_1)
	v_max_i32_e32 v2, v0, v1
	v_mul_u64_e32 v[4:5], s[2:3], v[2:3]
	s_delay_alu instid0(VALU_DEP_1) | instskip(SKIP_1) | instid1(VALU_DEP_2)
	v_mul_lo_u32 v1, v5, s51
	v_add_nc_u32_e32 v4, 1, v5
	v_sub_nc_u32_e32 v1, v2, v1
	s_delay_alu instid0(VALU_DEP_1) | instskip(SKIP_1) | instid1(VALU_DEP_4)
	v_subrev_nc_u32_e32 v6, s51, v1
	v_cmp_le_u32_e32 vcc_lo, s51, v1
	v_cndmask_b32_e32 v4, v5, v4, vcc_lo
	s_delay_alu instid0(VALU_DEP_1) | instskip(NEXT) | instid1(VALU_DEP_1)
	v_dual_cndmask_b32 v1, v1, v6, vcc_lo :: v_dual_add_nc_u32 v5, 1, v4
	v_cmp_le_u32_e32 vcc_lo, s51, v1
	s_delay_alu instid0(VALU_DEP_2) | instskip(SKIP_1) | instid1(VALU_DEP_2)
	v_dual_cndmask_b32 v1, v4, v5, vcc_lo :: v_dual_bitop2_b32 v6, s35, v10 bitop3:0x14
	v_mul_u64_e32 v[4:5], s[18:19], v[2:3]
	v_xor_b32_e32 v1, v1, v6
	s_delay_alu instid0(VALU_DEP_1) | instskip(NEXT) | instid1(VALU_DEP_1)
	v_sub_nc_u32_e32 v1, v1, v6
	v_sub_nc_u32_e32 v4, 0, v1
	s_delay_alu instid0(VALU_DEP_1) | instskip(SKIP_1) | instid1(VALU_DEP_1)
	v_max_i32_e32 v6, v1, v4
	v_mul_lo_u32 v4, v5, s53
	v_dual_sub_nc_u32 v2, v2, v4 :: v_dual_add_nc_u32 v4, 1, v5
	s_delay_alu instid0(VALU_DEP_3) | instskip(NEXT) | instid1(VALU_DEP_2)
	v_mul_u64_e32 v[8:9], s[8:9], v[6:7]
	v_subrev_nc_u32_e32 v8, s53, v2
	v_cmp_le_u32_e32 vcc_lo, s53, v2
	s_delay_alu instid0(VALU_DEP_4) | instskip(NEXT) | instid1(VALU_DEP_3)
	v_cndmask_b32_e32 v4, v5, v4, vcc_lo
	v_dual_cndmask_b32 v2, v2, v8, vcc_lo :: v_dual_bitop2_b32 v8, s56, v10 bitop3:0x14
	s_delay_alu instid0(VALU_DEP_1) | instskip(SKIP_1) | instid1(VALU_DEP_1)
	v_cmp_le_u32_e32 vcc_lo, s53, v2
	v_mul_lo_u32 v7, v9, s1
	v_dual_add_nc_u32 v5, 1, v4 :: v_dual_sub_nc_u32 v6, v6, v7
	s_delay_alu instid0(VALU_DEP_1) | instskip(NEXT) | instid1(VALU_DEP_2)
	v_cndmask_b32_e32 v2, v4, v5, vcc_lo
	v_subrev_nc_u32_e32 v4, s1, v6
	s_delay_alu instid0(VALU_DEP_2) | instskip(SKIP_1) | instid1(VALU_DEP_3)
	v_xor_b32_e32 v5, v2, v8
	v_cmp_le_u32_e32 vcc_lo, s1, v6
	v_cndmask_b32_e32 v2, v6, v4, vcc_lo
	s_delay_alu instid0(VALU_DEP_3) | instskip(SKIP_1) | instid1(VALU_DEP_1)
	v_sub_nc_u32_e32 v4, v5, v8
	s_and_not1_b32 vcc_lo, exec_lo, s48
	v_ashrrev_i32_e32 v5, 31, v4
	s_delay_alu instid0(VALU_DEP_3)
	v_cmp_le_u32_e64 s0, s1, v2
	s_cbranch_vccnz .LBB36_5
; %bb.4:                                ;   in Loop: Header=BB36_3 Depth=1
	s_mov_b32 s16, 0
.LBB36_5:                               ;   in Loop: Header=BB36_3 Depth=1
	v_subrev_nc_u32_e32 v6, s1, v2
	v_mul_lo_u32 v8, v1, s34
	v_ashrrev_i32_e32 v1, 31, v1
	s_and_not1_b32 vcc_lo, exec_lo, s16
	s_delay_alu instid0(VALU_DEP_3) | instskip(SKIP_1) | instid1(VALU_DEP_2)
	v_cndmask_b32_e64 v2, v2, v6, s0
	v_mov_b64_e32 v[6:7], 0
	v_dual_sub_nc_u32 v8, v0, v8 :: v_dual_bitop2_b32 v2, v2, v1 bitop3:0x14
	s_delay_alu instid0(VALU_DEP_1)
	v_sub_nc_u32_e32 v10, v2, v1
	s_cbranch_vccnz .LBB36_16
; %bb.6:                                ;   in Loop: Header=BB36_3 Depth=1
	s_delay_alu instid0(VALU_DEP_1) | instskip(NEXT) | instid1(VALU_DEP_3)
	v_mul_lo_u32 v1, v10, s13
	v_mad_u32 v9, v8, s14, s37
	v_mov_b64_e32 v[6:7], 0
	s_mov_b32 s58, 0
	s_mov_b64 s[16:17], s[38:39]
	s_branch .LBB36_8
.LBB36_7:                               ;   in Loop: Header=BB36_8 Depth=2
	s_add_co_i32 s58, s58, 1
	s_add_nc_u64 s[16:17], s[16:17], s[40:41]
	s_cmp_eq_u32 s58, s6
	s_cbranch_scc1 .LBB36_16
.LBB36_8:                               ;   Parent Loop BB36_3 Depth=1
                                        ; =>  This Loop Header: Depth=2
                                        ;       Child Loop BB36_11 Depth 3
                                        ;         Child Loop BB36_14 Depth 4
	s_and_not1_b32 vcc_lo, exec_lo, s49
	s_cbranch_vccnz .LBB36_7
; %bb.9:                                ;   in Loop: Header=BB36_8 Depth=2
	v_mad_nc_u64_u32 v[12:13], s58, s52, v[4:5]
	s_mov_b32 s59, 0
	s_mov_b64 s[44:45], s[16:17]
	s_delay_alu instid0(VALU_DEP_1) | instskip(NEXT) | instid1(VALU_DEP_1)
	v_mad_u32 v13, s58, s7, v13
	v_mul_u64_e32 v[12:13], s[28:29], v[12:13]
	s_branch .LBB36_11
.LBB36_10:                              ;   in Loop: Header=BB36_11 Depth=3
	s_add_co_i32 s59, s59, 1
	s_add_nc_u64 s[44:45], s[44:45], s[42:43]
	s_cmp_eq_u32 s59, s36
	s_cbranch_scc1 .LBB36_7
.LBB36_11:                              ;   Parent Loop BB36_3 Depth=1
                                        ;     Parent Loop BB36_8 Depth=2
                                        ; =>    This Loop Header: Depth=3
                                        ;         Child Loop BB36_14 Depth 4
	s_and_not1_b32 vcc_lo, exec_lo, s50
	s_cbranch_vccnz .LBB36_10
; %bb.12:                               ;   in Loop: Header=BB36_11 Depth=3
	s_mul_i32 s0, s59, s11
	s_mov_b64 s[46:47], s[44:45]
	s_sub_co_i32 s0, s0, s15
	s_mov_b32 s61, s10
	v_add_nc_u32_e32 v2, s0, v1
	s_delay_alu instid0(VALU_DEP_1)
	v_add_nc_u64_e32 v[14:15], v[12:13], v[2:3]
	v_cmp_gt_i32_e32 vcc_lo, 0, v2
	v_cmp_le_i32_e64 s0, s28, v2
	v_mov_b32_e32 v2, v9
	s_or_b32 s60, vcc_lo, s0
	v_mul_u64_e32 v[14:15], s[30:31], v[14:15]
	s_delay_alu instid0(VALU_DEP_1)
	v_lshl_add_u64 v[14:15], v[14:15], 2, s[20:21]
	s_branch .LBB36_14
.LBB36_13:                              ;   in Loop: Header=BB36_14 Depth=4
	s_or_b32 exec_lo, exec_lo, s0
	v_add_nc_u32_e32 v2, s12, v2
	s_add_co_i32 s61, s61, -1
	s_add_nc_u64 s[46:47], s[46:47], 4
	s_cmp_eq_u32 s61, 0
	s_cbranch_scc1 .LBB36_10
.LBB36_14:                              ;   Parent Loop BB36_3 Depth=1
                                        ;     Parent Loop BB36_8 Depth=2
                                        ;       Parent Loop BB36_11 Depth=3
                                        ; =>      This Inner Loop Header: Depth=4
	v_cmp_gt_i32_e32 vcc_lo, 0, v2
	v_cmp_le_i32_e64 s0, s30, v2
	s_or_b32 s0, vcc_lo, s0
	s_delay_alu instid0(SALU_CYCLE_1) | instskip(NEXT) | instid1(SALU_CYCLE_1)
	s_nor_b32 s62, s60, s0
	s_and_saveexec_b32 s0, s62
	s_cbranch_execz .LBB36_13
; %bb.15:                               ;   in Loop: Header=BB36_14 Depth=4
	v_lshl_add_u64 v[16:17], v[2:3], 2, v[14:15]
	s_load_b32 s62, s[46:47], 0x0
	global_load_b32 v11, v[16:17], off
	s_wait_kmcnt 0x0
	v_cvt_f64_f32_e32 v[18:19], s62
	s_wait_loadcnt 0x0
	s_wait_xcnt 0x0
	v_cvt_f64_f32_e32 v[16:17], v11
	s_delay_alu instid0(VALU_DEP_1)
	v_fmac_f64_e32 v[6:7], v[16:17], v[18:19]
	s_branch .LBB36_13
.LBB36_16:                              ;   in Loop: Header=BB36_3 Depth=1
	s_delay_alu instid0(VALU_DEP_1) | instskip(SKIP_1) | instid1(VALU_DEP_1)
	v_dual_ashrrev_i32 v11, 31, v10 :: v_dual_ashrrev_i32 v9, 31, v8
	s_and_not1_b32 vcc_lo, exec_lo, s54
	v_mad_nc_u64_u32 v[10:11], v4, s4, v[10:11]
	s_delay_alu instid0(VALU_DEP_1) | instskip(NEXT) | instid1(VALU_DEP_1)
	v_mad_u32 v1, v5, s4, v11
	v_mad_u32 v11, v4, s5, v1
	s_delay_alu instid0(VALU_DEP_1) | instskip(NEXT) | instid1(VALU_DEP_1)
	v_mul_u64_e32 v[4:5], s[34:35], v[10:11]
	v_lshl_add_u64 v[4:5], v[4:5], 2, s[22:23]
	s_delay_alu instid0(VALU_DEP_1)
	v_lshl_add_u64 v[4:5], v[8:9], 2, v[4:5]
	s_cbranch_vccnz .LBB36_2
; %bb.17:                               ;   in Loop: Header=BB36_3 Depth=1
	global_load_b32 v1, v[4:5], off
	s_wait_loadcnt 0x0
	v_cvt_f64_f32_e32 v[8:9], v1
	s_delay_alu instid0(VALU_DEP_1) | instskip(NEXT) | instid1(VALU_DEP_1)
	v_mul_f64_e32 v[8:9], s[26:27], v[8:9]
	v_fmac_f64_e32 v[8:9], s[24:25], v[6:7]
	s_delay_alu instid0(VALU_DEP_1)
	v_mov_b64_e32 v[6:7], v[8:9]
	s_branch .LBB36_2
.LBB36_18:
	s_endpgm
	.section	.rodata,"a",@progbits
	.p2align	6, 0x0
	.amdhsa_kernel naive_conv_ab_packed_wrw_nchw_float_double_float
		.amdhsa_group_segment_fixed_size 0
		.amdhsa_private_segment_fixed_size 0
		.amdhsa_kernarg_size 480
		.amdhsa_user_sgpr_count 2
		.amdhsa_user_sgpr_dispatch_ptr 0
		.amdhsa_user_sgpr_queue_ptr 0
		.amdhsa_user_sgpr_kernarg_segment_ptr 1
		.amdhsa_user_sgpr_dispatch_id 0
		.amdhsa_user_sgpr_kernarg_preload_length 0
		.amdhsa_user_sgpr_kernarg_preload_offset 0
		.amdhsa_user_sgpr_private_segment_size 0
		.amdhsa_wavefront_size32 1
		.amdhsa_uses_dynamic_stack 0
		.amdhsa_enable_private_segment 0
		.amdhsa_system_sgpr_workgroup_id_x 1
		.amdhsa_system_sgpr_workgroup_id_y 0
		.amdhsa_system_sgpr_workgroup_id_z 0
		.amdhsa_system_sgpr_workgroup_info 0
		.amdhsa_system_vgpr_workitem_id 0
		.amdhsa_next_free_vgpr 20
		.amdhsa_next_free_sgpr 63
		.amdhsa_named_barrier_count 0
		.amdhsa_reserve_vcc 1
		.amdhsa_float_round_mode_32 0
		.amdhsa_float_round_mode_16_64 0
		.amdhsa_float_denorm_mode_32 3
		.amdhsa_float_denorm_mode_16_64 3
		.amdhsa_fp16_overflow 0
		.amdhsa_memory_ordered 1
		.amdhsa_forward_progress 1
		.amdhsa_inst_pref_size 12
		.amdhsa_round_robin_scheduling 0
		.amdhsa_exception_fp_ieee_invalid_op 0
		.amdhsa_exception_fp_denorm_src 0
		.amdhsa_exception_fp_ieee_div_zero 0
		.amdhsa_exception_fp_ieee_overflow 0
		.amdhsa_exception_fp_ieee_underflow 0
		.amdhsa_exception_fp_ieee_inexact 0
		.amdhsa_exception_int_div_zero 0
	.end_amdhsa_kernel
	.text
.Lfunc_end36:
	.size	naive_conv_ab_packed_wrw_nchw_float_double_float, .Lfunc_end36-naive_conv_ab_packed_wrw_nchw_float_double_float
                                        ; -- End function
	.set naive_conv_ab_packed_wrw_nchw_float_double_float.num_vgpr, 20
	.set naive_conv_ab_packed_wrw_nchw_float_double_float.num_agpr, 0
	.set naive_conv_ab_packed_wrw_nchw_float_double_float.numbered_sgpr, 63
	.set naive_conv_ab_packed_wrw_nchw_float_double_float.num_named_barrier, 0
	.set naive_conv_ab_packed_wrw_nchw_float_double_float.private_seg_size, 0
	.set naive_conv_ab_packed_wrw_nchw_float_double_float.uses_vcc, 1
	.set naive_conv_ab_packed_wrw_nchw_float_double_float.uses_flat_scratch, 0
	.set naive_conv_ab_packed_wrw_nchw_float_double_float.has_dyn_sized_stack, 0
	.set naive_conv_ab_packed_wrw_nchw_float_double_float.has_recursion, 0
	.set naive_conv_ab_packed_wrw_nchw_float_double_float.has_indirect_call, 0
	.section	.AMDGPU.csdata,"",@progbits
; Kernel info:
; codeLenInByte = 1428
; TotalNumSgprs: 65
; NumVgprs: 20
; ScratchSize: 0
; MemoryBound: 0
; FloatMode: 240
; IeeeMode: 1
; LDSByteSize: 0 bytes/workgroup (compile time only)
; SGPRBlocks: 0
; VGPRBlocks: 1
; NumSGPRsForWavesPerEU: 65
; NumVGPRsForWavesPerEU: 20
; NamedBarCnt: 0
; Occupancy: 16
; WaveLimiterHint : 0
; COMPUTE_PGM_RSRC2:SCRATCH_EN: 0
; COMPUTE_PGM_RSRC2:USER_SGPR: 2
; COMPUTE_PGM_RSRC2:TRAP_HANDLER: 0
; COMPUTE_PGM_RSRC2:TGID_X_EN: 1
; COMPUTE_PGM_RSRC2:TGID_Y_EN: 0
; COMPUTE_PGM_RSRC2:TGID_Z_EN: 0
; COMPUTE_PGM_RSRC2:TIDIG_COMP_CNT: 0
	.text
	.protected	naive_conv_ab_nonpacked_wrw_nchw_float_double_float ; -- Begin function naive_conv_ab_nonpacked_wrw_nchw_float_double_float
	.globl	naive_conv_ab_nonpacked_wrw_nchw_float_double_float
	.p2align	8
	.type	naive_conv_ab_nonpacked_wrw_nchw_float_double_float,@function
naive_conv_ab_nonpacked_wrw_nchw_float_double_float: ; @naive_conv_ab_nonpacked_wrw_nchw_float_double_float
; %bb.0:
	s_clause 0x1
	s_load_b256 s[20:27], s[0:1], 0xa0
	s_load_b128 s[28:31], s[0:1], 0xd0
	s_bfe_u32 s2, ttmp6, 0x4000c
	s_and_b32 s3, ttmp6, 15
	s_add_co_i32 s2, s2, 1
	s_getreg_b32 s4, hwreg(HW_REG_IB_STS2, 6, 4)
	s_mul_i32 s2, ttmp9, s2
	s_delay_alu instid0(SALU_CYCLE_1)
	s_add_co_i32 s3, s3, s2
	s_cmp_eq_u32 s4, 0
	s_mov_b32 s4, exec_lo
	s_wait_kmcnt 0x0
	s_cselect_b32 s31, ttmp9, s3
	s_mov_b32 s3, 0
	s_abs_i32 s33, s23
	s_mul_i32 s56, s30, s29
	s_cvt_f32_u32 s2, s33
	s_mul_i32 s24, s56, s24
	s_delay_alu instid0(SALU_CYCLE_2) | instskip(SKIP_1) | instid1(TRANS32_DEP_1)
	v_rcp_iflag_f32_e32 v1, s2
	v_nop
	v_readfirstlane_b32 s2, v1
	v_cmpx_gt_i32_e64 s24, v0
	s_cbranch_execz .LBB37_18
; %bb.1:
	s_mul_f32 s2, s2, 0x4f7ffffe
	s_sub_co_i32 s4, 0, s33
	s_mov_b32 s35, s3
	s_ashr_i32 s57, s31, 31
	s_cvt_u32_f32 s34, s2
	s_abs_i32 s2, s31
	s_ashr_i32 s58, s23, 31
	s_load_b128 s[52:55], s[0:1], 0x88
	s_mul_i32 s4, s4, s34
	s_xor_b32 s57, s57, s58
	s_mul_hi_u32 s44, s34, s4
	s_load_b512 s[4:19], s[0:1], 0x28
	s_add_co_i32 s34, s34, s44
	s_load_b256 s[44:51], s[0:1], 0x68
	s_mul_u64 s[34:35], s[2:3], s[34:35]
	s_load_b256 s[36:43], s[0:1], 0x0
	s_mul_i32 s34, s35, s33
	s_load_b64 s[60:61], s[0:1], 0x20
	s_sub_co_i32 s2, s2, s34
	s_add_co_i32 s34, s35, 1
	s_sub_co_i32 s58, s2, s33
	s_cmp_ge_u32 s2, s33
	s_clause 0x1
	s_load_b32 s64, s[0:1], 0xec
	s_load_b64 s[68:69], s[0:1], 0x98
	s_cselect_b32 s34, s34, s35
	s_cselect_b32 s2, s58, s2
	s_add_co_i32 s35, s34, 1
	s_cmp_ge_u32 s2, s33
	v_mov_b32_e32 v3, 0
	s_cselect_b32 s2, s35, s34
	s_delay_alu instid0(SALU_CYCLE_1) | instskip(NEXT) | instid1(SALU_CYCLE_1)
	s_xor_b32 s2, s2, s57
	s_sub_co_i32 s34, s2, s57
	s_delay_alu instid0(SALU_CYCLE_1)
	s_mul_i32 s23, s34, s23
	s_ashr_i32 s35, s34, 31
	s_sub_co_i32 s58, s31, s23
	s_wait_kmcnt 0x0
	s_mul_u64 s[46:47], s[46:47], s[34:35]
	s_ashr_i32 s59, s58, 31
	s_mul_u64 s[10:11], s[10:11], s[34:35]
	s_mul_u64 s[34:35], s[54:55], s[34:35]
	s_lshl_b64 s[54:55], s[46:47], 2
	s_mul_u64 s[44:45], s[44:45], s[58:59]
	s_mul_u64 s[46:47], s[52:53], s[58:59]
	v_cmp_neq_f64_e64 s2, s[40:41], 1.0
	v_cmp_neq_f64_e64 s57, s[42:43], 0
	s_lshl_b64 s[10:11], s[10:11], 2
	s_lshl_b64 s[34:35], s[34:35], 2
	;; [unrolled: 1-line block ×4, first 2 shown]
	s_cmp_lt_i32 s22, 1
	s_add_nc_u64 s[10:11], s[36:37], s[10:11]
	s_cselect_b32 s23, -1, 0
	s_cmp_gt_i32 s25, 0
	s_add_nc_u64 s[36:37], s[38:39], s[54:55]
	s_cselect_b32 s31, -1, 0
	s_cmp_gt_i32 s26, 0
	s_add_nc_u64 s[38:39], s[60:61], s[34:35]
	s_cselect_b32 s33, -1, 0
	s_abs_i32 s62, s30
	s_abs_i32 s63, s56
	s_cvt_f32_u32 s44, s62
	s_add_nc_u64 s[34:35], s[36:37], s[52:53]
	s_add_nc_u64 s[36:37], s[38:39], s[58:59]
	s_sub_co_i32 s38, 0, s62
	v_rcp_iflag_f32_e32 v1, s44
	s_load_b128 s[44:47], s[0:1], 0xc0
	s_wait_xcnt 0x0
	s_abs_i32 s1, s29
	s_sub_co_i32 s53, 0, s63
	s_cvt_f32_u32 s0, s1
	s_and_b32 s64, s64, 0xffff
	s_ashr_i32 s66, s30, 31
	v_nop
	v_readfirstlane_b32 s29, v1
	v_rcp_iflag_f32_e32 v1, s0
	s_cvt_f32_u32 s0, s63
	s_mov_b32 s39, s3
	s_ashr_i32 s67, s56, 31
	s_mul_f32 s29, s29, 0x4f7ffffe
	v_rcp_iflag_f32_e32 v2, s0
	s_or_b32 s65, s2, s57
	v_nop
	v_readfirstlane_b32 s0, v1
	s_cvt_u32_f32 s29, s29
	s_mov_b32 s55, s3
	s_lshl_b64 s[56:57], s[68:69], 2
	s_lshl_b64 s[50:51], s[50:51], 2
	v_readfirstlane_b32 s2, v2
	s_mul_f32 s0, s0, 0x4f7ffffe
	s_mul_i32 s38, s38, s29
	s_lshl_b64 s[48:49], s[48:49], 2
	s_mul_hi_u32 s38, s29, s38
	s_cvt_u32_f32 s0, s0
	s_mul_f32 s2, s2, 0x4f7ffffe
	s_add_co_i32 s38, s29, s38
	s_sub_co_i32 s29, 0, s1
	s_sub_co_i32 s68, 0, s28
	s_mul_i32 s29, s29, s0
	s_cvt_u32_f32 s2, s2
	s_mul_hi_u32 s29, s0, s29
	s_mov_b32 s69, 0
	s_add_co_i32 s52, s0, s29
	s_mul_i32 s0, s53, s2
	s_mov_b32 s53, s3
	s_mul_hi_u32 s0, s2, s0
	s_delay_alu instid0(SALU_CYCLE_1)
	s_add_co_i32 s54, s2, s0
	s_branch .LBB37_3
.LBB37_2:                               ;   in Loop: Header=BB37_3 Depth=1
	s_delay_alu instid0(VALU_DEP_1) | instskip(SKIP_1) | instid1(VALU_DEP_1)
	v_cvt_f32_f64_e32 v1, v[6:7]
	v_add_nc_u32_e32 v0, s64, v0
	v_cmp_le_i32_e32 vcc_lo, s24, v0
	s_or_b32 s69, vcc_lo, s69
	global_store_b32 v[4:5], v1, off
	s_wait_xcnt 0x0
	s_and_not1_b32 exec_lo, exec_lo, s69
	s_cbranch_execz .LBB37_18
.LBB37_3:                               ; =>This Loop Header: Depth=1
                                        ;     Child Loop BB37_8 Depth 2
                                        ;       Child Loop BB37_11 Depth 3
                                        ;         Child Loop BB37_14 Depth 4
	v_sub_nc_u32_e32 v1, 0, v0
	s_mov_b32 s2, -1
	v_dual_mov_b32 v7, v3 :: v_dual_ashrrev_i32 v10, 31, v0
	s_delay_alu instid0(VALU_DEP_2) | instskip(NEXT) | instid1(VALU_DEP_1)
	v_max_i32_e32 v2, v0, v1
	v_mul_u64_e32 v[4:5], s[38:39], v[2:3]
	s_delay_alu instid0(VALU_DEP_1) | instskip(SKIP_1) | instid1(VALU_DEP_2)
	v_mul_lo_u32 v1, v5, s62
	v_add_nc_u32_e32 v4, 1, v5
	v_sub_nc_u32_e32 v1, v2, v1
	s_delay_alu instid0(VALU_DEP_1) | instskip(SKIP_1) | instid1(VALU_DEP_4)
	v_subrev_nc_u32_e32 v6, s62, v1
	v_cmp_le_u32_e32 vcc_lo, s62, v1
	v_cndmask_b32_e32 v4, v5, v4, vcc_lo
	s_delay_alu instid0(VALU_DEP_1) | instskip(NEXT) | instid1(VALU_DEP_1)
	v_dual_cndmask_b32 v1, v1, v6, vcc_lo :: v_dual_add_nc_u32 v5, 1, v4
	v_cmp_le_u32_e32 vcc_lo, s62, v1
	s_delay_alu instid0(VALU_DEP_2) | instskip(SKIP_1) | instid1(VALU_DEP_2)
	v_dual_cndmask_b32 v1, v4, v5, vcc_lo :: v_dual_bitop2_b32 v6, s66, v10 bitop3:0x14
	v_mul_u64_e32 v[4:5], s[54:55], v[2:3]
	v_xor_b32_e32 v1, v1, v6
	s_delay_alu instid0(VALU_DEP_1) | instskip(NEXT) | instid1(VALU_DEP_1)
	v_sub_nc_u32_e32 v1, v1, v6
	v_sub_nc_u32_e32 v4, 0, v1
	s_delay_alu instid0(VALU_DEP_1) | instskip(SKIP_1) | instid1(VALU_DEP_1)
	v_max_i32_e32 v6, v1, v4
	v_mul_lo_u32 v4, v5, s63
	v_dual_sub_nc_u32 v2, v2, v4 :: v_dual_add_nc_u32 v4, 1, v5
	s_delay_alu instid0(VALU_DEP_3) | instskip(NEXT) | instid1(VALU_DEP_2)
	v_mul_u64_e32 v[8:9], s[52:53], v[6:7]
	v_subrev_nc_u32_e32 v8, s63, v2
	v_cmp_le_u32_e32 vcc_lo, s63, v2
	s_delay_alu instid0(VALU_DEP_4) | instskip(NEXT) | instid1(VALU_DEP_3)
	v_cndmask_b32_e32 v4, v5, v4, vcc_lo
	v_dual_cndmask_b32 v2, v2, v8, vcc_lo :: v_dual_bitop2_b32 v8, s67, v10 bitop3:0x14
	s_delay_alu instid0(VALU_DEP_1) | instskip(SKIP_1) | instid1(VALU_DEP_1)
	v_cmp_le_u32_e32 vcc_lo, s63, v2
	v_mul_lo_u32 v7, v9, s1
	v_dual_add_nc_u32 v5, 1, v4 :: v_dual_sub_nc_u32 v6, v6, v7
	s_delay_alu instid0(VALU_DEP_1) | instskip(NEXT) | instid1(VALU_DEP_2)
	v_cndmask_b32_e32 v2, v4, v5, vcc_lo
	v_subrev_nc_u32_e32 v4, s1, v6
	s_delay_alu instid0(VALU_DEP_2) | instskip(SKIP_1) | instid1(VALU_DEP_3)
	v_xor_b32_e32 v5, v2, v8
	v_cmp_le_u32_e32 vcc_lo, s1, v6
	v_cndmask_b32_e32 v2, v6, v4, vcc_lo
	s_delay_alu instid0(VALU_DEP_3) | instskip(SKIP_1) | instid1(VALU_DEP_1)
	v_sub_nc_u32_e32 v4, v5, v8
	s_and_not1_b32 vcc_lo, exec_lo, s23
	v_ashrrev_i32_e32 v5, 31, v4
	s_delay_alu instid0(VALU_DEP_3)
	v_cmp_le_u32_e64 s0, s1, v2
	s_cbranch_vccnz .LBB37_5
; %bb.4:                                ;   in Loop: Header=BB37_3 Depth=1
	s_mov_b32 s2, 0
.LBB37_5:                               ;   in Loop: Header=BB37_3 Depth=1
	v_subrev_nc_u32_e32 v6, s1, v2
	v_mul_lo_u32 v8, v1, s30
	v_ashrrev_i32_e32 v1, 31, v1
	s_and_not1_b32 vcc_lo, exec_lo, s2
	s_delay_alu instid0(VALU_DEP_3) | instskip(SKIP_1) | instid1(VALU_DEP_2)
	v_cndmask_b32_e64 v2, v2, v6, s0
	v_mov_b64_e32 v[6:7], 0
	v_dual_sub_nc_u32 v8, v0, v8 :: v_dual_bitop2_b32 v2, v2, v1 bitop3:0x14
	s_delay_alu instid0(VALU_DEP_1)
	v_sub_nc_u32_e32 v10, v2, v1
	s_cbranch_vccnz .LBB37_16
; %bb.6:                                ;   in Loop: Header=BB37_3 Depth=1
	v_mul_u64_e32 v[12:13], s[8:9], v[4:5]
	s_wait_kmcnt 0x0
	s_delay_alu instid0(VALU_DEP_2) | instskip(SKIP_4) | instid1(VALU_DEP_4)
	v_mul_lo_u32 v1, v10, s45
	v_mad_u32 v9, v8, s46, s68
	v_mov_b64_e32 v[6:7], 0
	s_mov_b32 s2, 0
	s_mov_b64 s[28:29], s[36:37]
	v_lshl_add_u64 v[12:13], v[12:13], 2, s[10:11]
	s_branch .LBB37_8
.LBB37_7:                               ;   in Loop: Header=BB37_8 Depth=2
	s_add_co_i32 s2, s2, 1
	s_add_nc_u64 s[28:29], s[28:29], s[56:57]
	s_cmp_eq_u32 s2, s22
	s_cbranch_scc1 .LBB37_16
.LBB37_8:                               ;   Parent Loop BB37_3 Depth=1
                                        ; =>  This Loop Header: Depth=2
                                        ;       Child Loop BB37_11 Depth 3
                                        ;         Child Loop BB37_14 Depth 4
	s_and_not1_b32 vcc_lo, exec_lo, s31
	s_cbranch_vccnz .LBB37_7
; %bb.9:                                ;   in Loop: Header=BB37_8 Depth=2
	s_mul_u64 s[58:59], s[12:13], s[2:3]
	s_mov_b32 s70, 0
	v_lshl_add_u64 v[14:15], s[58:59], 2, v[12:13]
	s_mov_b64 s[58:59], s[28:29]
	s_branch .LBB37_11
.LBB37_10:                              ;   in Loop: Header=BB37_11 Depth=3
	s_add_co_i32 s70, s70, 1
	s_add_nc_u64 s[58:59], s[58:59], s[50:51]
	s_cmp_eq_u32 s70, s25
	s_cbranch_scc1 .LBB37_7
.LBB37_11:                              ;   Parent Loop BB37_3 Depth=1
                                        ;     Parent Loop BB37_8 Depth=2
                                        ; =>    This Loop Header: Depth=3
                                        ;         Child Loop BB37_14 Depth 4
	s_and_not1_b32 vcc_lo, exec_lo, s33
	s_cbranch_vccnz .LBB37_10
; %bb.12:                               ;   in Loop: Header=BB37_11 Depth=3
	s_mul_i32 s0, s70, s27
	s_mov_b64 s[60:61], s[58:59]
	s_sub_co_i32 s0, s0, s47
	s_mov_b32 s72, s26
	v_add_nc_u32_e32 v2, s0, v1
	s_delay_alu instid0(VALU_DEP_1)
	v_mul_u64_e32 v[16:17], s[6:7], v[2:3]
	v_cmp_gt_i32_e32 vcc_lo, 0, v2
	v_cmp_le_i32_e64 s0, s20, v2
	v_mov_b32_e32 v2, v9
	s_or_b32 s71, vcc_lo, s0
	v_lshl_add_u64 v[16:17], v[16:17], 2, v[14:15]
	s_branch .LBB37_14
.LBB37_13:                              ;   in Loop: Header=BB37_14 Depth=4
	s_or_b32 exec_lo, exec_lo, s0
	v_add_nc_u32_e32 v2, s44, v2
	s_add_co_i32 s72, s72, -1
	s_add_nc_u64 s[60:61], s[60:61], s[48:49]
	s_cmp_eq_u32 s72, 0
	s_cbranch_scc1 .LBB37_10
.LBB37_14:                              ;   Parent Loop BB37_3 Depth=1
                                        ;     Parent Loop BB37_8 Depth=2
                                        ;       Parent Loop BB37_11 Depth=3
                                        ; =>      This Inner Loop Header: Depth=4
	s_delay_alu instid0(VALU_DEP_2) | instskip(SKIP_2) | instid1(SALU_CYCLE_1)
	v_cmp_gt_i32_e32 vcc_lo, 0, v2
	v_cmp_le_i32_e64 s0, s21, v2
	s_or_b32 s0, vcc_lo, s0
	s_nor_b32 s73, s71, s0
	s_delay_alu instid0(SALU_CYCLE_1)
	s_and_saveexec_b32 s0, s73
	s_cbranch_execz .LBB37_13
; %bb.15:                               ;   in Loop: Header=BB37_14 Depth=4
	v_mul_u64_e32 v[18:19], s[4:5], v[2:3]
	s_load_b32 s73, s[60:61], 0x0
	s_wait_kmcnt 0x0
	v_cvt_f64_f32_e32 v[20:21], s73
	s_delay_alu instid0(VALU_DEP_2) | instskip(SKIP_4) | instid1(VALU_DEP_1)
	v_lshl_add_u64 v[18:19], v[18:19], 2, v[16:17]
	global_load_b32 v11, v[18:19], off
	s_wait_loadcnt 0x0
	s_wait_xcnt 0x0
	v_cvt_f64_f32_e32 v[18:19], v11
	v_fmac_f64_e32 v[6:7], v[18:19], v[20:21]
	s_branch .LBB37_13
.LBB37_16:                              ;   in Loop: Header=BB37_3 Depth=1
	s_delay_alu instid0(VALU_DEP_1) | instskip(SKIP_2) | instid1(VALU_DEP_2)
	v_dual_ashrrev_i32 v11, 31, v10 :: v_dual_ashrrev_i32 v9, 31, v8
	v_mul_u64_e32 v[4:5], s[18:19], v[4:5]
	s_and_not1_b32 vcc_lo, exec_lo, s65
	v_mul_u64_e32 v[10:11], s[16:17], v[10:11]
	s_delay_alu instid0(VALU_DEP_3) | instskip(NEXT) | instid1(VALU_DEP_3)
	v_mul_u64_e32 v[8:9], s[14:15], v[8:9]
	v_lshl_add_u64 v[4:5], v[4:5], 2, s[34:35]
	s_delay_alu instid0(VALU_DEP_1) | instskip(NEXT) | instid1(VALU_DEP_1)
	v_lshl_add_u64 v[4:5], v[10:11], 2, v[4:5]
	v_lshl_add_u64 v[4:5], v[8:9], 2, v[4:5]
	s_cbranch_vccnz .LBB37_2
; %bb.17:                               ;   in Loop: Header=BB37_3 Depth=1
	global_load_b32 v1, v[4:5], off
	s_wait_loadcnt 0x0
	v_cvt_f64_f32_e32 v[8:9], v1
	s_delay_alu instid0(VALU_DEP_1) | instskip(NEXT) | instid1(VALU_DEP_1)
	v_mul_f64_e32 v[8:9], s[42:43], v[8:9]
	v_fmac_f64_e32 v[8:9], s[40:41], v[6:7]
	s_delay_alu instid0(VALU_DEP_1)
	v_mov_b64_e32 v[6:7], v[8:9]
	s_branch .LBB37_2
.LBB37_18:
	s_endpgm
	.section	.rodata,"a",@progbits
	.p2align	6, 0x0
	.amdhsa_kernel naive_conv_ab_nonpacked_wrw_nchw_float_double_float
		.amdhsa_group_segment_fixed_size 0
		.amdhsa_private_segment_fixed_size 0
		.amdhsa_kernarg_size 480
		.amdhsa_user_sgpr_count 2
		.amdhsa_user_sgpr_dispatch_ptr 0
		.amdhsa_user_sgpr_queue_ptr 0
		.amdhsa_user_sgpr_kernarg_segment_ptr 1
		.amdhsa_user_sgpr_dispatch_id 0
		.amdhsa_user_sgpr_kernarg_preload_length 0
		.amdhsa_user_sgpr_kernarg_preload_offset 0
		.amdhsa_user_sgpr_private_segment_size 0
		.amdhsa_wavefront_size32 1
		.amdhsa_uses_dynamic_stack 0
		.amdhsa_enable_private_segment 0
		.amdhsa_system_sgpr_workgroup_id_x 1
		.amdhsa_system_sgpr_workgroup_id_y 0
		.amdhsa_system_sgpr_workgroup_id_z 0
		.amdhsa_system_sgpr_workgroup_info 0
		.amdhsa_system_vgpr_workitem_id 0
		.amdhsa_next_free_vgpr 22
		.amdhsa_next_free_sgpr 74
		.amdhsa_named_barrier_count 0
		.amdhsa_reserve_vcc 1
		.amdhsa_float_round_mode_32 0
		.amdhsa_float_round_mode_16_64 0
		.amdhsa_float_denorm_mode_32 3
		.amdhsa_float_denorm_mode_16_64 3
		.amdhsa_fp16_overflow 0
		.amdhsa_memory_ordered 1
		.amdhsa_forward_progress 1
		.amdhsa_inst_pref_size 12
		.amdhsa_round_robin_scheduling 0
		.amdhsa_exception_fp_ieee_invalid_op 0
		.amdhsa_exception_fp_denorm_src 0
		.amdhsa_exception_fp_ieee_div_zero 0
		.amdhsa_exception_fp_ieee_overflow 0
		.amdhsa_exception_fp_ieee_underflow 0
		.amdhsa_exception_fp_ieee_inexact 0
		.amdhsa_exception_int_div_zero 0
	.end_amdhsa_kernel
	.text
.Lfunc_end37:
	.size	naive_conv_ab_nonpacked_wrw_nchw_float_double_float, .Lfunc_end37-naive_conv_ab_nonpacked_wrw_nchw_float_double_float
                                        ; -- End function
	.set naive_conv_ab_nonpacked_wrw_nchw_float_double_float.num_vgpr, 22
	.set naive_conv_ab_nonpacked_wrw_nchw_float_double_float.num_agpr, 0
	.set naive_conv_ab_nonpacked_wrw_nchw_float_double_float.numbered_sgpr, 74
	.set naive_conv_ab_nonpacked_wrw_nchw_float_double_float.num_named_barrier, 0
	.set naive_conv_ab_nonpacked_wrw_nchw_float_double_float.private_seg_size, 0
	.set naive_conv_ab_nonpacked_wrw_nchw_float_double_float.uses_vcc, 1
	.set naive_conv_ab_nonpacked_wrw_nchw_float_double_float.uses_flat_scratch, 0
	.set naive_conv_ab_nonpacked_wrw_nchw_float_double_float.has_dyn_sized_stack, 0
	.set naive_conv_ab_nonpacked_wrw_nchw_float_double_float.has_recursion, 0
	.set naive_conv_ab_nonpacked_wrw_nchw_float_double_float.has_indirect_call, 0
	.section	.AMDGPU.csdata,"",@progbits
; Kernel info:
; codeLenInByte = 1424
; TotalNumSgprs: 76
; NumVgprs: 22
; ScratchSize: 0
; MemoryBound: 0
; FloatMode: 240
; IeeeMode: 1
; LDSByteSize: 0 bytes/workgroup (compile time only)
; SGPRBlocks: 0
; VGPRBlocks: 1
; NumSGPRsForWavesPerEU: 76
; NumVGPRsForWavesPerEU: 22
; NamedBarCnt: 0
; Occupancy: 16
; WaveLimiterHint : 0
; COMPUTE_PGM_RSRC2:SCRATCH_EN: 0
; COMPUTE_PGM_RSRC2:USER_SGPR: 2
; COMPUTE_PGM_RSRC2:TRAP_HANDLER: 0
; COMPUTE_PGM_RSRC2:TGID_X_EN: 1
; COMPUTE_PGM_RSRC2:TGID_Y_EN: 0
; COMPUTE_PGM_RSRC2:TGID_Z_EN: 0
; COMPUTE_PGM_RSRC2:TIDIG_COMP_CNT: 0
	.text
	.protected	naive_conv_ab_packed_wrw_nchw_half_double_half ; -- Begin function naive_conv_ab_packed_wrw_nchw_half_double_half
	.globl	naive_conv_ab_packed_wrw_nchw_half_double_half
	.p2align	8
	.type	naive_conv_ab_packed_wrw_nchw_half_double_half,@function
naive_conv_ab_packed_wrw_nchw_half_double_half: ; @naive_conv_ab_packed_wrw_nchw_half_double_half
; %bb.0:
	s_load_b512 s[4:19], s[0:1], 0xa0
	s_bfe_u32 s2, ttmp6, 0x4000c
	s_and_b32 s3, ttmp6, 15
	s_add_co_i32 s2, s2, 1
	s_getreg_b32 s20, hwreg(HW_REG_IB_STS2, 6, 4)
	s_mul_i32 s2, ttmp9, s2
	s_delay_alu instid0(SALU_CYCLE_1)
	s_add_co_i32 s3, s3, s2
	s_cmp_eq_u32 s20, 0
	s_mov_b32 s20, exec_lo
	s_cselect_b32 s34, ttmp9, s3
	s_mov_b32 s3, 0
	s_wait_kmcnt 0x0
	s_abs_i32 s29, s7
	s_mul_i32 s40, s18, s17
	s_cvt_f32_u32 s2, s29
	s_mul_i32 s33, s40, s8
	s_delay_alu instid0(SALU_CYCLE_2) | instskip(SKIP_1) | instid1(TRANS32_DEP_1)
	v_rcp_iflag_f32_e32 v1, s2
	v_nop
	v_readfirstlane_b32 s2, v1
	v_cmpx_gt_i32_e64 s33, v0
	s_cbranch_execz .LBB38_20
; %bb.1:
	s_mul_f32 s2, s2, 0x4f7ffffe
	s_mov_b32 s31, s3
	s_ashr_i32 s35, s34, 31
	s_ashr_i32 s37, s7, 31
	s_cvt_u32_f32 s28, s2
	s_sub_co_i32 s2, 0, s29
	s_xor_b32 s35, s35, s37
	s_load_b256 s[20:27], s[0:1], 0x0
	s_mul_i32 s30, s2, s28
	s_abs_i32 s2, s34
	s_mul_hi_u32 s30, s28, s30
	s_mov_b32 s38, s8
	s_add_co_i32 s30, s28, s30
	s_mov_b32 s28, s4
	s_mul_u64 s[30:31], s[2:3], s[30:31]
	s_clause 0x1
	s_load_b64 s[58:59], s[0:1], 0x20
	s_load_b32 s55, s[0:1], 0xec
	s_mul_i32 s30, s31, s29
	s_add_co_i32 s36, s31, 1
	s_sub_co_i32 s2, s2, s30
	s_mov_b32 s30, s5
	s_sub_co_i32 s39, s2, s29
	s_cmp_ge_u32 s2, s29
	s_mul_i32 s52, s19, s8
	s_cselect_b32 s31, s36, s31
	s_cselect_b32 s2, s39, s2
	s_add_co_i32 s39, s31, 1
	s_cmp_ge_u32 s2, s29
	s_mov_b32 s36, s7
	s_cselect_b32 s2, s39, s31
	s_ashr_i32 s29, s4, 31
	s_xor_b32 s2, s2, s35
	s_ashr_i32 s31, s5, 31
	s_sub_co_i32 s42, s2, s35
	s_ashr_i32 s39, s8, 31
	s_mul_u64 s[4:5], s[30:31], s[28:29]
	s_mul_i32 s2, s42, s7
	s_mul_u64 s[44:45], s[4:5], s[38:39]
	s_ashr_i32 s43, s42, 31
	s_sub_co_i32 s46, s34, s2
	s_ashr_i32 s5, s17, 31
	s_mov_b32 s4, s17
	s_mul_u64 s[36:37], s[42:43], s[36:37]
	s_ashr_i32 s35, s18, 31
	s_mov_b32 s34, s18
	s_ashr_i32 s47, s46, 31
	s_mul_u64 s[48:49], s[4:5], s[38:39]
	s_add_nc_u64 s[38:39], s[36:37], s[46:47]
	s_mul_u64 s[36:37], s[48:49], s[34:35]
	s_wait_kmcnt 0x0
	v_cmp_neq_f64_e64 s2, s[24:25], 1.0
	v_cmp_neq_f64_e64 s41, s[26:27], 0
	s_mul_u64 s[42:43], s[44:45], s[42:43]
	s_mul_u64 s[36:37], s[36:37], s[38:39]
	s_lshl_b64 s[44:45], s[42:43], 1
	s_lshl_b64 s[46:47], s[36:37], 1
	s_ashr_i32 s37, s9, 31
	s_ashr_i32 s43, s10, 31
	s_cmp_lt_i32 s6, 1
	s_mov_b32 s36, s9
	s_cselect_b32 s48, -1, 0
	s_cmp_gt_i32 s9, 0
	s_mov_b32 s42, s10
	s_cselect_b32 s49, -1, 0
	s_cmp_gt_i32 s10, 0
	s_add_nc_u64 s[20:21], s[20:21], s[44:45]
	s_cselect_b32 s50, -1, 0
	s_abs_i32 s51, s18
	s_abs_i32 s1, s17
	s_cvt_f32_u32 s18, s51
	s_cvt_f32_u32 s0, s1
	s_abs_i32 s53, s40
	s_mul_i32 s44, s19, s7
	v_rcp_iflag_f32_e32 v1, s18
	v_rcp_iflag_f32_e32 v2, s0
	s_cvt_f32_u32 s8, s53
	s_ashr_i32 s56, s40, 31
	s_ashr_i32 s45, s44, 31
	v_mov_b32_e32 v3, 0
	s_add_nc_u64 s[22:23], s[22:23], s[46:47]
	v_readfirstlane_b32 s0, v1
	v_rcp_iflag_f32_e32 v1, s8
	v_readfirstlane_b32 s9, v2
	s_or_b32 s54, s2, s41
	s_sub_co_i32 s8, 0, s51
	s_mul_f32 s0, s0, 0x4f7ffffe
	s_mul_u64 s[40:41], s[42:43], s[36:37]
	s_mul_f32 s2, s9, 0x4f7ffffe
	v_readfirstlane_b32 s9, v1
	s_cvt_u32_f32 s0, s0
	s_mul_u64 s[38:39], s[40:41], s[38:39]
	s_cvt_u32_f32 s17, s2
	v_mov_b32_e32 v1, 0x7e00
	s_mul_i32 s8, s8, s0
	s_mul_f32 s9, s9, 0x4f7ffffe
	s_mul_hi_u32 s2, s0, s8
	s_sub_co_i32 s8, 0, s1
	s_add_co_i32 s2, s0, s2
	s_mul_i32 s8, s8, s17
	s_cvt_u32_f32 s18, s9
	s_mul_hi_u32 s0, s17, s8
	s_lshl_b64 s[38:39], s[38:39], 1
	s_add_co_i32 s8, s17, s0
	s_sub_co_i32 s0, 0, s53
	s_mul_u64 s[40:41], s[40:41], s[44:45]
	s_mul_i32 s0, s0, s18
	s_ashr_i32 s7, s52, 31
	s_mul_hi_u32 s0, s18, s0
	s_and_b32 s55, s55, 0xffff
	s_mov_b32 s9, s3
	s_add_co_i32 s18, s18, s0
	s_mov_b32 s19, s3
	s_add_nc_u64 s[38:39], s[58:59], s[38:39]
	s_lshl_b64 s[40:41], s[40:41], 1
	s_lshl_b64 s[42:43], s[42:43], 1
	s_sub_co_i32 s37, 0, s16
	s_mov_b32 s57, s3
	s_branch .LBB38_3
.LBB38_2:                               ;   in Loop: Header=BB38_3 Depth=1
	v_add_nc_u32_e32 v0, s55, v0
	s_delay_alu instid0(VALU_DEP_1)
	v_cmp_le_i32_e32 vcc_lo, s33, v0
	s_or_b32 s57, vcc_lo, s57
	s_wait_xcnt 0x0
	s_and_not1_b32 exec_lo, exec_lo, s57
	s_cbranch_execz .LBB38_20
.LBB38_3:                               ; =>This Loop Header: Depth=1
                                        ;     Child Loop BB38_8 Depth 2
                                        ;       Child Loop BB38_11 Depth 3
                                        ;         Child Loop BB38_14 Depth 4
	v_sub_nc_u32_e32 v2, 0, v0
	s_mov_b32 s16, -1
	s_delay_alu instid0(VALU_DEP_1) | instskip(NEXT) | instid1(VALU_DEP_1)
	v_dual_ashrrev_i32 v10, 31, v0 :: v_dual_max_i32 v2, v0, v2
	v_mul_u64_e32 v[4:5], s[2:3], v[2:3]
	s_delay_alu instid0(VALU_DEP_1) | instskip(NEXT) | instid1(VALU_DEP_1)
	v_mul_lo_u32 v4, v5, s51
	v_dual_add_nc_u32 v6, 1, v5 :: v_dual_sub_nc_u32 v4, v2, v4
	s_delay_alu instid0(VALU_DEP_1) | instskip(NEXT) | instid1(VALU_DEP_2)
	v_cmp_le_u32_e32 vcc_lo, s51, v4
	v_cndmask_b32_e32 v5, v5, v6, vcc_lo
	v_subrev_nc_u32_e32 v7, s51, v4
	s_delay_alu instid0(VALU_DEP_1) | instskip(SKIP_1) | instid1(VALU_DEP_2)
	v_dual_add_nc_u32 v6, 1, v5 :: v_dual_cndmask_b32 v4, v4, v7, vcc_lo
	v_xor_b32_e32 v7, s35, v10
	v_cmp_le_u32_e32 vcc_lo, s51, v4
	s_delay_alu instid0(VALU_DEP_3) | instskip(NEXT) | instid1(VALU_DEP_1)
	v_cndmask_b32_e32 v4, v5, v6, vcc_lo
	v_xor_b32_e32 v6, v4, v7
	v_mul_u64_e32 v[4:5], s[18:19], v[2:3]
	s_delay_alu instid0(VALU_DEP_2) | instskip(NEXT) | instid1(VALU_DEP_1)
	v_dual_mov_b32 v7, v3 :: v_dual_sub_nc_u32 v4, v6, v7
	v_sub_nc_u32_e32 v6, 0, v4
	s_delay_alu instid0(VALU_DEP_1) | instskip(NEXT) | instid1(VALU_DEP_1)
	v_max_i32_e32 v6, v4, v6
	v_mul_u64_e32 v[8:9], s[8:9], v[6:7]
	v_mul_lo_u32 v7, v5, s53
	s_delay_alu instid0(VALU_DEP_1) | instskip(NEXT) | instid1(VALU_DEP_1)
	v_dual_sub_nc_u32 v2, v2, v7 :: v_dual_add_nc_u32 v7, 1, v5
	v_cmp_le_u32_e32 vcc_lo, s53, v2
	s_delay_alu instid0(VALU_DEP_4) | instskip(SKIP_1) | instid1(VALU_DEP_1)
	v_mul_lo_u32 v8, v9, s1
	v_subrev_nc_u32_e32 v9, s53, v2
	v_dual_cndmask_b32 v5, v5, v7 :: v_dual_cndmask_b32 v2, v2, v9
	s_delay_alu instid0(VALU_DEP_1) | instskip(NEXT) | instid1(VALU_DEP_4)
	v_dual_add_nc_u32 v7, 1, v5 :: v_dual_bitop2_b32 v9, s56, v10 bitop3:0x14
	v_sub_nc_u32_e32 v6, v6, v8
	s_delay_alu instid0(VALU_DEP_3) | instskip(NEXT) | instid1(VALU_DEP_3)
	v_cmp_le_u32_e32 vcc_lo, s53, v2
	v_cndmask_b32_e32 v2, v5, v7, vcc_lo
	s_delay_alu instid0(VALU_DEP_3) | instskip(SKIP_1) | instid1(VALU_DEP_3)
	v_subrev_nc_u32_e32 v5, s1, v6
	v_cmp_le_u32_e32 vcc_lo, s1, v6
	v_xor_b32_e32 v7, v2, v9
	s_delay_alu instid0(VALU_DEP_3) | instskip(SKIP_1) | instid1(VALU_DEP_2)
	v_cndmask_b32_e32 v2, v6, v5, vcc_lo
	s_and_not1_b32 vcc_lo, exec_lo, s48
	v_sub_nc_u32_e32 v6, v7, v9
	s_delay_alu instid0(VALU_DEP_1) | instskip(NEXT) | instid1(VALU_DEP_3)
	v_ashrrev_i32_e32 v7, 31, v6
	v_cmp_le_u32_e64 s0, s1, v2
	s_cbranch_vccnz .LBB38_5
; %bb.4:                                ;   in Loop: Header=BB38_3 Depth=1
	s_mov_b32 s16, 0
.LBB38_5:                               ;   in Loop: Header=BB38_3 Depth=1
	v_subrev_nc_u32_e32 v5, s1, v2
	v_mul_lo_u32 v8, v4, s34
	v_ashrrev_i32_e32 v9, 31, v4
	s_and_not1_b32 vcc_lo, exec_lo, s16
	s_delay_alu instid0(VALU_DEP_3) | instskip(SKIP_1) | instid1(VALU_DEP_2)
	v_cndmask_b32_e64 v2, v2, v5, s0
	v_mov_b64_e32 v[4:5], 0
	v_dual_sub_nc_u32 v8, v0, v8 :: v_dual_bitop2_b32 v2, v2, v9 bitop3:0x14
	s_delay_alu instid0(VALU_DEP_1)
	v_sub_nc_u32_e32 v10, v2, v9
	s_cbranch_vccnz .LBB38_16
; %bb.6:                                ;   in Loop: Header=BB38_3 Depth=1
	s_delay_alu instid0(VALU_DEP_1) | instskip(NEXT) | instid1(VALU_DEP_3)
	v_mul_lo_u32 v9, v10, s13
	v_mad_u32 v11, v8, s14, s37
	v_mov_b64_e32 v[4:5], 0
	s_mov_b32 s58, 0
	s_mov_b64 s[16:17], s[38:39]
	s_branch .LBB38_8
.LBB38_7:                               ;   in Loop: Header=BB38_8 Depth=2
	s_add_co_i32 s58, s58, 1
	s_add_nc_u64 s[16:17], s[16:17], s[40:41]
	s_cmp_eq_u32 s58, s6
	s_cbranch_scc1 .LBB38_16
.LBB38_8:                               ;   Parent Loop BB38_3 Depth=1
                                        ; =>  This Loop Header: Depth=2
                                        ;       Child Loop BB38_11 Depth 3
                                        ;         Child Loop BB38_14 Depth 4
	s_and_not1_b32 vcc_lo, exec_lo, s49
	s_cbranch_vccnz .LBB38_7
; %bb.9:                                ;   in Loop: Header=BB38_8 Depth=2
	v_mad_nc_u64_u32 v[12:13], s58, s52, v[6:7]
	s_mov_b32 s59, 0
	s_mov_b64 s[44:45], s[16:17]
	s_delay_alu instid0(VALU_DEP_1) | instskip(NEXT) | instid1(VALU_DEP_1)
	v_mad_u32 v13, s58, s7, v13
	v_mul_u64_e32 v[12:13], s[28:29], v[12:13]
	s_branch .LBB38_11
.LBB38_10:                              ;   in Loop: Header=BB38_11 Depth=3
	s_add_co_i32 s59, s59, 1
	s_add_nc_u64 s[44:45], s[44:45], s[42:43]
	s_cmp_eq_u32 s59, s36
	s_cbranch_scc1 .LBB38_7
.LBB38_11:                              ;   Parent Loop BB38_3 Depth=1
                                        ;     Parent Loop BB38_8 Depth=2
                                        ; =>    This Loop Header: Depth=3
                                        ;         Child Loop BB38_14 Depth 4
	s_and_not1_b32 vcc_lo, exec_lo, s50
	s_cbranch_vccnz .LBB38_10
; %bb.12:                               ;   in Loop: Header=BB38_11 Depth=3
	s_mul_i32 s0, s59, s11
	s_mov_b64 s[46:47], s[44:45]
	s_sub_co_i32 s0, s0, s15
	s_mov_b32 s61, s10
	v_add_nc_u32_e32 v2, s0, v9
	s_delay_alu instid0(VALU_DEP_1)
	v_add_nc_u64_e32 v[14:15], v[12:13], v[2:3]
	v_cmp_gt_i32_e32 vcc_lo, 0, v2
	v_cmp_le_i32_e64 s0, s28, v2
	v_mov_b32_e32 v2, v11
	s_or_b32 s60, vcc_lo, s0
	v_mul_u64_e32 v[14:15], s[30:31], v[14:15]
	s_delay_alu instid0(VALU_DEP_1)
	v_lshl_add_u64 v[14:15], v[14:15], 1, s[20:21]
	s_branch .LBB38_14
.LBB38_13:                              ;   in Loop: Header=BB38_14 Depth=4
	s_wait_xcnt 0x0
	s_or_b32 exec_lo, exec_lo, s0
	v_add_nc_u32_e32 v2, s12, v2
	s_add_co_i32 s61, s61, -1
	s_add_nc_u64 s[46:47], s[46:47], 2
	s_cmp_eq_u32 s61, 0
	s_cbranch_scc1 .LBB38_10
.LBB38_14:                              ;   Parent Loop BB38_3 Depth=1
                                        ;     Parent Loop BB38_8 Depth=2
                                        ;       Parent Loop BB38_11 Depth=3
                                        ; =>      This Inner Loop Header: Depth=4
	v_cmp_gt_i32_e32 vcc_lo, 0, v2
	v_cmp_le_i32_e64 s0, s30, v2
	s_or_b32 s0, vcc_lo, s0
	s_delay_alu instid0(SALU_CYCLE_1) | instskip(NEXT) | instid1(SALU_CYCLE_1)
	s_nor_b32 s62, s60, s0
	s_and_saveexec_b32 s0, s62
	s_cbranch_execz .LBB38_13
; %bb.15:                               ;   in Loop: Header=BB38_14 Depth=4
	v_lshl_add_u64 v[16:17], v[2:3], 1, v[14:15]
	global_load_u16 v16, v[16:17], off
	global_load_u16 v17, v3, s[46:47]
	s_wait_loadcnt 0x1
	v_cvt_f32_f16_e32 v16, v16
	s_wait_loadcnt 0x0
	v_cvt_f32_f16_e32 v18, v17
	s_delay_alu instid0(VALU_DEP_2) | instskip(NEXT) | instid1(VALU_DEP_2)
	v_cvt_f64_f32_e32 v[16:17], v16
	v_cvt_f64_f32_e32 v[18:19], v18
	s_delay_alu instid0(VALU_DEP_1)
	v_fmac_f64_e32 v[4:5], v[16:17], v[18:19]
	s_branch .LBB38_13
.LBB38_16:                              ;   in Loop: Header=BB38_3 Depth=1
	s_delay_alu instid0(VALU_DEP_1) | instskip(SKIP_2) | instid1(VALU_DEP_1)
	v_dual_ashrrev_i32 v11, 31, v10 :: v_dual_ashrrev_i32 v9, 31, v8
	s_and_b32 vcc_lo, exec_lo, s54
	s_mov_b32 s0, -1
	v_mad_nc_u64_u32 v[10:11], v6, s4, v[10:11]
	s_delay_alu instid0(VALU_DEP_1) | instskip(NEXT) | instid1(VALU_DEP_1)
	v_mad_u32 v2, v7, s4, v11
	v_mad_u32 v2, v6, s5, v2
	s_delay_alu instid0(VALU_DEP_3) | instskip(NEXT) | instid1(VALU_DEP_1)
	v_mad_nc_u64_u32 v[6:7], v10, s34, v[8:9]
	v_mad_u32 v2, v2, s34, v7
	s_delay_alu instid0(VALU_DEP_1) | instskip(NEXT) | instid1(VALU_DEP_1)
	v_mad_u32 v7, v10, s35, v2
	v_lshl_add_u64 v[6:7], v[6:7], 1, s[22:23]
	s_cbranch_vccz .LBB38_18
; %bb.17:                               ;   in Loop: Header=BB38_3 Depth=1
	global_load_u16 v2, v[6:7], off
	s_mov_b32 s0, 0
	s_wait_loadcnt 0x0
	v_cvt_f32_f16_e32 v2, v2
	s_delay_alu instid0(VALU_DEP_1) | instskip(NEXT) | instid1(VALU_DEP_1)
	v_cvt_f64_f32_e32 v[8:9], v2
	v_mul_f64_e32 v[8:9], s[26:27], v[8:9]
	s_delay_alu instid0(VALU_DEP_1) | instskip(NEXT) | instid1(VALU_DEP_1)
	v_fmac_f64_e32 v[8:9], s[24:25], v[4:5]
	v_and_or_b32 v2, 0x1ff, v9, v8
	v_lshrrev_b32_e32 v8, 8, v9
	v_bfe_u32 v10, v9, 20, 11
	s_delay_alu instid0(VALU_DEP_3) | instskip(NEXT) | instid1(VALU_DEP_2)
	v_cmp_ne_u32_e32 vcc_lo, 0, v2
	v_sub_nc_u32_e32 v11, 0x3f1, v10
	v_add_nc_u32_e32 v10, 0xfffffc10, v10
	v_cndmask_b32_e64 v2, 0, 1, vcc_lo
	s_delay_alu instid0(VALU_DEP_1) | instskip(NEXT) | instid1(VALU_DEP_4)
	v_and_or_b32 v2, 0xffe, v8, v2
	v_med3_i32 v8, v11, 0, 13
	s_delay_alu instid0(VALU_DEP_2) | instskip(NEXT) | instid1(VALU_DEP_1)
	v_or_b32_e32 v11, 0x1000, v2
	v_lshrrev_b32_e32 v12, v8, v11
	s_delay_alu instid0(VALU_DEP_1) | instskip(NEXT) | instid1(VALU_DEP_1)
	v_lshlrev_b32_e32 v8, v8, v12
	v_cmp_ne_u32_e32 vcc_lo, v8, v11
	v_lshl_or_b32 v11, v10, 12, v2
	v_cndmask_b32_e64 v8, 0, 1, vcc_lo
	v_cmp_gt_i32_e32 vcc_lo, 1, v10
	s_delay_alu instid0(VALU_DEP_2) | instskip(NEXT) | instid1(VALU_DEP_1)
	v_or_b32_e32 v8, v12, v8
	v_cndmask_b32_e32 v8, v11, v8, vcc_lo
	s_delay_alu instid0(VALU_DEP_1) | instskip(NEXT) | instid1(VALU_DEP_1)
	v_dual_lshrrev_b32 v8, 2, v8 :: v_dual_bitop2_b32 v11, 7, v8 bitop3:0x40
	v_cmp_lt_i32_e32 vcc_lo, 5, v11
	v_cndmask_b32_e64 v12, 0, 1, vcc_lo
	v_cmp_eq_u32_e32 vcc_lo, 3, v11
	v_cndmask_b32_e64 v11, 0, 1, vcc_lo
	v_cmp_ne_u32_e32 vcc_lo, 0, v2
	s_delay_alu instid0(VALU_DEP_2) | instskip(SKIP_2) | instid1(VALU_DEP_3)
	v_or_b32_e32 v11, v11, v12
	v_cndmask_b32_e32 v2, 0x7c00, v1, vcc_lo
	v_cmp_gt_i32_e32 vcc_lo, 31, v10
	v_add_nc_u32_e32 v8, v8, v11
	s_delay_alu instid0(VALU_DEP_1) | instskip(SKIP_1) | instid1(VALU_DEP_2)
	v_cndmask_b32_e32 v8, 0x7c00, v8, vcc_lo
	v_cmp_eq_u32_e32 vcc_lo, 0x40f, v10
	v_dual_cndmask_b32 v2, v8, v2, vcc_lo :: v_dual_lshrrev_b32 v8, 16, v9
	s_delay_alu instid0(VALU_DEP_1)
	v_and_or_b32 v2, 0x8000, v8, v2
	global_store_b16 v[6:7], v2, off
.LBB38_18:                              ;   in Loop: Header=BB38_3 Depth=1
	s_and_not1_b32 vcc_lo, exec_lo, s0
	s_cbranch_vccnz .LBB38_2
; %bb.19:                               ;   in Loop: Header=BB38_3 Depth=1
	s_wait_xcnt 0x0
	v_and_or_b32 v2, 0x1ff, v5, v4
	v_lshrrev_b32_e32 v4, 8, v5
	v_bfe_u32 v8, v5, 20, 11
	s_delay_alu instid0(VALU_DEP_3) | instskip(NEXT) | instid1(VALU_DEP_2)
	v_cmp_ne_u32_e32 vcc_lo, 0, v2
	v_sub_nc_u32_e32 v9, 0x3f1, v8
	v_add_nc_u32_e32 v8, 0xfffffc10, v8
	v_cndmask_b32_e64 v2, 0, 1, vcc_lo
	s_delay_alu instid0(VALU_DEP_1) | instskip(NEXT) | instid1(VALU_DEP_4)
	v_and_or_b32 v2, 0xffe, v4, v2
	v_med3_i32 v4, v9, 0, 13
	s_delay_alu instid0(VALU_DEP_2) | instskip(NEXT) | instid1(VALU_DEP_1)
	v_or_b32_e32 v9, 0x1000, v2
	v_lshrrev_b32_e32 v10, v4, v9
	s_delay_alu instid0(VALU_DEP_1) | instskip(NEXT) | instid1(VALU_DEP_1)
	v_lshlrev_b32_e32 v4, v4, v10
	v_cmp_ne_u32_e32 vcc_lo, v4, v9
	v_lshl_or_b32 v9, v8, 12, v2
	v_cndmask_b32_e64 v4, 0, 1, vcc_lo
	v_cmp_gt_i32_e32 vcc_lo, 1, v8
	s_delay_alu instid0(VALU_DEP_2) | instskip(NEXT) | instid1(VALU_DEP_1)
	v_or_b32_e32 v4, v10, v4
	v_cndmask_b32_e32 v4, v9, v4, vcc_lo
	s_delay_alu instid0(VALU_DEP_1) | instskip(NEXT) | instid1(VALU_DEP_1)
	v_dual_lshrrev_b32 v4, 2, v4 :: v_dual_bitop2_b32 v9, 7, v4 bitop3:0x40
	v_cmp_lt_i32_e32 vcc_lo, 5, v9
	v_cndmask_b32_e64 v10, 0, 1, vcc_lo
	v_cmp_eq_u32_e32 vcc_lo, 3, v9
	v_cndmask_b32_e64 v9, 0, 1, vcc_lo
	v_cmp_ne_u32_e32 vcc_lo, 0, v2
	s_delay_alu instid0(VALU_DEP_2) | instskip(SKIP_2) | instid1(VALU_DEP_3)
	v_or_b32_e32 v9, v9, v10
	v_cndmask_b32_e32 v2, 0x7c00, v1, vcc_lo
	v_cmp_gt_i32_e32 vcc_lo, 31, v8
	v_add_nc_u32_e32 v4, v4, v9
	s_delay_alu instid0(VALU_DEP_1) | instskip(SKIP_1) | instid1(VALU_DEP_2)
	v_cndmask_b32_e32 v4, 0x7c00, v4, vcc_lo
	v_cmp_eq_u32_e32 vcc_lo, 0x40f, v8
	v_dual_cndmask_b32 v2, v4, v2, vcc_lo :: v_dual_lshrrev_b32 v4, 16, v5
	s_delay_alu instid0(VALU_DEP_1)
	v_and_or_b32 v2, 0x8000, v4, v2
	global_store_b16 v[6:7], v2, off
	s_branch .LBB38_2
.LBB38_20:
	s_endpgm
	.section	.rodata,"a",@progbits
	.p2align	6, 0x0
	.amdhsa_kernel naive_conv_ab_packed_wrw_nchw_half_double_half
		.amdhsa_group_segment_fixed_size 0
		.amdhsa_private_segment_fixed_size 0
		.amdhsa_kernarg_size 480
		.amdhsa_user_sgpr_count 2
		.amdhsa_user_sgpr_dispatch_ptr 0
		.amdhsa_user_sgpr_queue_ptr 0
		.amdhsa_user_sgpr_kernarg_segment_ptr 1
		.amdhsa_user_sgpr_dispatch_id 0
		.amdhsa_user_sgpr_kernarg_preload_length 0
		.amdhsa_user_sgpr_kernarg_preload_offset 0
		.amdhsa_user_sgpr_private_segment_size 0
		.amdhsa_wavefront_size32 1
		.amdhsa_uses_dynamic_stack 0
		.amdhsa_enable_private_segment 0
		.amdhsa_system_sgpr_workgroup_id_x 1
		.amdhsa_system_sgpr_workgroup_id_y 0
		.amdhsa_system_sgpr_workgroup_id_z 0
		.amdhsa_system_sgpr_workgroup_info 0
		.amdhsa_system_vgpr_workitem_id 0
		.amdhsa_next_free_vgpr 20
		.amdhsa_next_free_sgpr 63
		.amdhsa_named_barrier_count 0
		.amdhsa_reserve_vcc 1
		.amdhsa_float_round_mode_32 0
		.amdhsa_float_round_mode_16_64 0
		.amdhsa_float_denorm_mode_32 3
		.amdhsa_float_denorm_mode_16_64 3
		.amdhsa_fp16_overflow 0
		.amdhsa_memory_ordered 1
		.amdhsa_forward_progress 1
		.amdhsa_inst_pref_size 16
		.amdhsa_round_robin_scheduling 0
		.amdhsa_exception_fp_ieee_invalid_op 0
		.amdhsa_exception_fp_denorm_src 0
		.amdhsa_exception_fp_ieee_div_zero 0
		.amdhsa_exception_fp_ieee_overflow 0
		.amdhsa_exception_fp_ieee_underflow 0
		.amdhsa_exception_fp_ieee_inexact 0
		.amdhsa_exception_int_div_zero 0
	.end_amdhsa_kernel
	.text
.Lfunc_end38:
	.size	naive_conv_ab_packed_wrw_nchw_half_double_half, .Lfunc_end38-naive_conv_ab_packed_wrw_nchw_half_double_half
                                        ; -- End function
	.set naive_conv_ab_packed_wrw_nchw_half_double_half.num_vgpr, 20
	.set naive_conv_ab_packed_wrw_nchw_half_double_half.num_agpr, 0
	.set naive_conv_ab_packed_wrw_nchw_half_double_half.numbered_sgpr, 63
	.set naive_conv_ab_packed_wrw_nchw_half_double_half.num_named_barrier, 0
	.set naive_conv_ab_packed_wrw_nchw_half_double_half.private_seg_size, 0
	.set naive_conv_ab_packed_wrw_nchw_half_double_half.uses_vcc, 1
	.set naive_conv_ab_packed_wrw_nchw_half_double_half.uses_flat_scratch, 0
	.set naive_conv_ab_packed_wrw_nchw_half_double_half.has_dyn_sized_stack, 0
	.set naive_conv_ab_packed_wrw_nchw_half_double_half.has_recursion, 0
	.set naive_conv_ab_packed_wrw_nchw_half_double_half.has_indirect_call, 0
	.section	.AMDGPU.csdata,"",@progbits
; Kernel info:
; codeLenInByte = 2004
; TotalNumSgprs: 65
; NumVgprs: 20
; ScratchSize: 0
; MemoryBound: 0
; FloatMode: 240
; IeeeMode: 1
; LDSByteSize: 0 bytes/workgroup (compile time only)
; SGPRBlocks: 0
; VGPRBlocks: 1
; NumSGPRsForWavesPerEU: 65
; NumVGPRsForWavesPerEU: 20
; NamedBarCnt: 0
; Occupancy: 16
; WaveLimiterHint : 0
; COMPUTE_PGM_RSRC2:SCRATCH_EN: 0
; COMPUTE_PGM_RSRC2:USER_SGPR: 2
; COMPUTE_PGM_RSRC2:TRAP_HANDLER: 0
; COMPUTE_PGM_RSRC2:TGID_X_EN: 1
; COMPUTE_PGM_RSRC2:TGID_Y_EN: 0
; COMPUTE_PGM_RSRC2:TGID_Z_EN: 0
; COMPUTE_PGM_RSRC2:TIDIG_COMP_CNT: 0
	.text
	.protected	naive_conv_ab_nonpacked_wrw_nchw_half_double_half ; -- Begin function naive_conv_ab_nonpacked_wrw_nchw_half_double_half
	.globl	naive_conv_ab_nonpacked_wrw_nchw_half_double_half
	.p2align	8
	.type	naive_conv_ab_nonpacked_wrw_nchw_half_double_half,@function
naive_conv_ab_nonpacked_wrw_nchw_half_double_half: ; @naive_conv_ab_nonpacked_wrw_nchw_half_double_half
; %bb.0:
	s_clause 0x1
	s_load_b256 s[20:27], s[0:1], 0xa0
	s_load_b128 s[28:31], s[0:1], 0xd0
	s_bfe_u32 s2, ttmp6, 0x4000c
	s_and_b32 s3, ttmp6, 15
	s_add_co_i32 s2, s2, 1
	s_getreg_b32 s4, hwreg(HW_REG_IB_STS2, 6, 4)
	s_mul_i32 s2, ttmp9, s2
	s_delay_alu instid0(SALU_CYCLE_1)
	s_add_co_i32 s3, s3, s2
	s_cmp_eq_u32 s4, 0
	s_mov_b32 s4, exec_lo
	s_wait_kmcnt 0x0
	s_cselect_b32 s31, ttmp9, s3
	s_mov_b32 s3, 0
	s_abs_i32 s33, s23
	s_mul_i32 s56, s30, s29
	s_cvt_f32_u32 s2, s33
	s_mul_i32 s24, s56, s24
	s_delay_alu instid0(SALU_CYCLE_2) | instskip(SKIP_1) | instid1(TRANS32_DEP_1)
	v_rcp_iflag_f32_e32 v1, s2
	v_nop
	v_readfirstlane_b32 s2, v1
	v_cmpx_gt_i32_e64 s24, v0
	s_cbranch_execz .LBB39_20
; %bb.1:
	s_mul_f32 s2, s2, 0x4f7ffffe
	s_sub_co_i32 s4, 0, s33
	s_mov_b32 s35, s3
	s_ashr_i32 s57, s31, 31
	s_cvt_u32_f32 s34, s2
	s_abs_i32 s2, s31
	s_ashr_i32 s58, s23, 31
	s_load_b128 s[52:55], s[0:1], 0x88
	s_mul_i32 s4, s4, s34
	s_xor_b32 s57, s57, s58
	s_mul_hi_u32 s44, s34, s4
	s_load_b512 s[4:19], s[0:1], 0x28
	s_add_co_i32 s34, s34, s44
	s_load_b256 s[44:51], s[0:1], 0x68
	s_mul_u64 s[34:35], s[2:3], s[34:35]
	s_load_b256 s[36:43], s[0:1], 0x0
	s_mul_i32 s34, s35, s33
	s_load_b64 s[60:61], s[0:1], 0x20
	s_sub_co_i32 s2, s2, s34
	s_add_co_i32 s34, s35, 1
	s_sub_co_i32 s58, s2, s33
	s_cmp_ge_u32 s2, s33
	s_clause 0x1
	s_load_b32 s64, s[0:1], 0xec
	s_load_b64 s[68:69], s[0:1], 0x98
	s_cselect_b32 s34, s34, s35
	s_cselect_b32 s2, s58, s2
	s_add_co_i32 s35, s34, 1
	s_cmp_ge_u32 s2, s33
	v_mov_b32_e32 v3, 0
	s_cselect_b32 s2, s35, s34
	s_delay_alu instid0(SALU_CYCLE_1) | instskip(NEXT) | instid1(SALU_CYCLE_1)
	s_xor_b32 s2, s2, s57
	s_sub_co_i32 s34, s2, s57
	s_delay_alu instid0(SALU_CYCLE_1)
	s_mul_i32 s23, s34, s23
	s_ashr_i32 s35, s34, 31
	s_sub_co_i32 s58, s31, s23
	s_wait_kmcnt 0x0
	s_mul_u64 s[46:47], s[46:47], s[34:35]
	s_ashr_i32 s59, s58, 31
	s_mul_u64 s[10:11], s[10:11], s[34:35]
	s_mul_u64 s[34:35], s[54:55], s[34:35]
	s_lshl_b64 s[54:55], s[46:47], 1
	s_mul_u64 s[44:45], s[44:45], s[58:59]
	s_mul_u64 s[46:47], s[52:53], s[58:59]
	v_cmp_neq_f64_e64 s2, s[40:41], 1.0
	v_cmp_neq_f64_e64 s57, s[42:43], 0
	s_lshl_b64 s[10:11], s[10:11], 1
	s_lshl_b64 s[34:35], s[34:35], 1
	s_lshl_b64 s[52:53], s[44:45], 1
	s_lshl_b64 s[58:59], s[46:47], 1
	s_cmp_lt_i32 s22, 1
	s_add_nc_u64 s[10:11], s[36:37], s[10:11]
	s_cselect_b32 s23, -1, 0
	s_cmp_gt_i32 s25, 0
	s_add_nc_u64 s[36:37], s[38:39], s[54:55]
	s_cselect_b32 s31, -1, 0
	s_cmp_gt_i32 s26, 0
	s_add_nc_u64 s[38:39], s[60:61], s[34:35]
	s_cselect_b32 s33, -1, 0
	s_abs_i32 s62, s30
	s_abs_i32 s63, s56
	s_cvt_f32_u32 s44, s62
	s_add_nc_u64 s[34:35], s[36:37], s[52:53]
	s_add_nc_u64 s[36:37], s[38:39], s[58:59]
	s_sub_co_i32 s38, 0, s62
	v_rcp_iflag_f32_e32 v1, s44
	s_load_b128 s[44:47], s[0:1], 0xc0
	s_wait_xcnt 0x0
	s_abs_i32 s1, s29
	s_sub_co_i32 s53, 0, s63
	s_cvt_f32_u32 s0, s1
	s_and_b32 s64, s64, 0xffff
	s_ashr_i32 s66, s30, 31
	v_nop
	v_readfirstlane_b32 s29, v1
	v_rcp_iflag_f32_e32 v1, s0
	s_cvt_f32_u32 s0, s63
	s_mov_b32 s39, s3
	s_ashr_i32 s67, s56, 31
	s_mul_f32 s29, s29, 0x4f7ffffe
	v_rcp_iflag_f32_e32 v2, s0
	s_or_b32 s65, s2, s57
	v_nop
	v_readfirstlane_b32 s0, v1
	s_cvt_u32_f32 s29, s29
	v_mov_b32_e32 v1, 0x7e00
	s_mov_b32 s55, s3
	s_lshl_b64 s[56:57], s[68:69], 1
	v_readfirstlane_b32 s2, v2
	s_mul_f32 s0, s0, 0x4f7ffffe
	s_mul_i32 s38, s38, s29
	s_lshl_b64 s[50:51], s[50:51], 1
	s_mul_hi_u32 s38, s29, s38
	s_cvt_u32_f32 s0, s0
	s_mul_f32 s2, s2, 0x4f7ffffe
	s_add_co_i32 s38, s29, s38
	s_sub_co_i32 s29, 0, s1
	s_lshl_b64 s[48:49], s[48:49], 1
	s_mul_i32 s29, s29, s0
	s_cvt_u32_f32 s2, s2
	s_mul_hi_u32 s29, s0, s29
	s_sub_co_i32 s68, 0, s28
	s_add_co_i32 s52, s0, s29
	s_mul_i32 s0, s53, s2
	s_mov_b32 s53, s3
	s_mul_hi_u32 s0, s2, s0
	s_mov_b32 s69, 0
	s_add_co_i32 s54, s2, s0
	s_branch .LBB39_3
.LBB39_2:                               ;   in Loop: Header=BB39_3 Depth=1
	v_add_nc_u32_e32 v0, s64, v0
	s_delay_alu instid0(VALU_DEP_1)
	v_cmp_le_i32_e32 vcc_lo, s24, v0
	s_or_b32 s69, vcc_lo, s69
	s_wait_xcnt 0x0
	s_and_not1_b32 exec_lo, exec_lo, s69
	s_cbranch_execz .LBB39_20
.LBB39_3:                               ; =>This Loop Header: Depth=1
                                        ;     Child Loop BB39_8 Depth 2
                                        ;       Child Loop BB39_11 Depth 3
                                        ;         Child Loop BB39_14 Depth 4
	v_sub_nc_u32_e32 v2, 0, v0
	s_mov_b32 s2, -1
	s_delay_alu instid0(VALU_DEP_1) | instskip(NEXT) | instid1(VALU_DEP_1)
	v_dual_ashrrev_i32 v10, 31, v0 :: v_dual_max_i32 v2, v0, v2
	v_mul_u64_e32 v[4:5], s[38:39], v[2:3]
	s_delay_alu instid0(VALU_DEP_1) | instskip(NEXT) | instid1(VALU_DEP_1)
	v_mul_lo_u32 v4, v5, s62
	v_dual_add_nc_u32 v6, 1, v5 :: v_dual_sub_nc_u32 v4, v2, v4
	s_delay_alu instid0(VALU_DEP_1) | instskip(NEXT) | instid1(VALU_DEP_2)
	v_cmp_le_u32_e32 vcc_lo, s62, v4
	v_cndmask_b32_e32 v5, v5, v6, vcc_lo
	v_subrev_nc_u32_e32 v7, s62, v4
	s_delay_alu instid0(VALU_DEP_1) | instskip(SKIP_1) | instid1(VALU_DEP_2)
	v_dual_add_nc_u32 v6, 1, v5 :: v_dual_cndmask_b32 v4, v4, v7, vcc_lo
	v_xor_b32_e32 v7, s66, v10
	v_cmp_le_u32_e32 vcc_lo, s62, v4
	s_delay_alu instid0(VALU_DEP_3) | instskip(NEXT) | instid1(VALU_DEP_1)
	v_cndmask_b32_e32 v4, v5, v6, vcc_lo
	v_xor_b32_e32 v6, v4, v7
	v_mul_u64_e32 v[4:5], s[54:55], v[2:3]
	s_delay_alu instid0(VALU_DEP_2) | instskip(NEXT) | instid1(VALU_DEP_1)
	v_dual_mov_b32 v7, v3 :: v_dual_sub_nc_u32 v4, v6, v7
	v_sub_nc_u32_e32 v6, 0, v4
	s_delay_alu instid0(VALU_DEP_1) | instskip(NEXT) | instid1(VALU_DEP_1)
	v_max_i32_e32 v6, v4, v6
	v_mul_u64_e32 v[8:9], s[52:53], v[6:7]
	v_mul_lo_u32 v7, v5, s63
	s_delay_alu instid0(VALU_DEP_1) | instskip(NEXT) | instid1(VALU_DEP_1)
	v_dual_sub_nc_u32 v2, v2, v7 :: v_dual_add_nc_u32 v7, 1, v5
	v_cmp_le_u32_e32 vcc_lo, s63, v2
	s_delay_alu instid0(VALU_DEP_4) | instskip(SKIP_1) | instid1(VALU_DEP_1)
	v_mul_lo_u32 v8, v9, s1
	v_subrev_nc_u32_e32 v9, s63, v2
	v_dual_cndmask_b32 v5, v5, v7 :: v_dual_cndmask_b32 v2, v2, v9
	s_delay_alu instid0(VALU_DEP_1) | instskip(NEXT) | instid1(VALU_DEP_4)
	v_dual_add_nc_u32 v7, 1, v5 :: v_dual_bitop2_b32 v9, s67, v10 bitop3:0x14
	v_sub_nc_u32_e32 v6, v6, v8
	s_delay_alu instid0(VALU_DEP_3) | instskip(NEXT) | instid1(VALU_DEP_3)
	v_cmp_le_u32_e32 vcc_lo, s63, v2
	v_cndmask_b32_e32 v2, v5, v7, vcc_lo
	s_delay_alu instid0(VALU_DEP_3) | instskip(SKIP_1) | instid1(VALU_DEP_3)
	v_subrev_nc_u32_e32 v5, s1, v6
	v_cmp_le_u32_e32 vcc_lo, s1, v6
	v_xor_b32_e32 v7, v2, v9
	s_delay_alu instid0(VALU_DEP_3) | instskip(SKIP_1) | instid1(VALU_DEP_2)
	v_cndmask_b32_e32 v2, v6, v5, vcc_lo
	s_and_not1_b32 vcc_lo, exec_lo, s23
	v_sub_nc_u32_e32 v6, v7, v9
	s_delay_alu instid0(VALU_DEP_1) | instskip(NEXT) | instid1(VALU_DEP_3)
	v_ashrrev_i32_e32 v7, 31, v6
	v_cmp_le_u32_e64 s0, s1, v2
	s_cbranch_vccnz .LBB39_5
; %bb.4:                                ;   in Loop: Header=BB39_3 Depth=1
	s_mov_b32 s2, 0
.LBB39_5:                               ;   in Loop: Header=BB39_3 Depth=1
	v_subrev_nc_u32_e32 v5, s1, v2
	v_mul_lo_u32 v8, v4, s30
	v_ashrrev_i32_e32 v9, 31, v4
	s_and_not1_b32 vcc_lo, exec_lo, s2
	s_delay_alu instid0(VALU_DEP_3) | instskip(SKIP_1) | instid1(VALU_DEP_2)
	v_cndmask_b32_e64 v2, v2, v5, s0
	v_mov_b64_e32 v[4:5], 0
	v_dual_sub_nc_u32 v8, v0, v8 :: v_dual_bitop2_b32 v2, v2, v9 bitop3:0x14
	s_delay_alu instid0(VALU_DEP_1)
	v_sub_nc_u32_e32 v16, v2, v9
	s_cbranch_vccnz .LBB39_16
; %bb.6:                                ;   in Loop: Header=BB39_3 Depth=1
	v_mul_u64_e32 v[10:11], s[8:9], v[6:7]
	s_wait_kmcnt 0x0
	s_delay_alu instid0(VALU_DEP_2) | instskip(SKIP_4) | instid1(VALU_DEP_4)
	v_mul_lo_u32 v9, v16, s45
	v_mad_u32 v17, v8, s46, s68
	v_mov_b64_e32 v[4:5], 0
	s_mov_b32 s2, 0
	s_mov_b64 s[28:29], s[36:37]
	v_lshl_add_u64 v[10:11], v[10:11], 1, s[10:11]
	s_branch .LBB39_8
.LBB39_7:                               ;   in Loop: Header=BB39_8 Depth=2
	s_add_co_i32 s2, s2, 1
	s_add_nc_u64 s[28:29], s[28:29], s[56:57]
	s_cmp_eq_u32 s2, s22
	s_cbranch_scc1 .LBB39_16
.LBB39_8:                               ;   Parent Loop BB39_3 Depth=1
                                        ; =>  This Loop Header: Depth=2
                                        ;       Child Loop BB39_11 Depth 3
                                        ;         Child Loop BB39_14 Depth 4
	s_and_not1_b32 vcc_lo, exec_lo, s31
	s_cbranch_vccnz .LBB39_7
; %bb.9:                                ;   in Loop: Header=BB39_8 Depth=2
	s_mul_u64 s[58:59], s[12:13], s[2:3]
	s_mov_b32 s70, 0
	v_lshl_add_u64 v[12:13], s[58:59], 1, v[10:11]
	s_mov_b64 s[58:59], s[28:29]
	s_branch .LBB39_11
.LBB39_10:                              ;   in Loop: Header=BB39_11 Depth=3
	s_add_co_i32 s70, s70, 1
	s_add_nc_u64 s[58:59], s[58:59], s[50:51]
	s_cmp_eq_u32 s70, s25
	s_cbranch_scc1 .LBB39_7
.LBB39_11:                              ;   Parent Loop BB39_3 Depth=1
                                        ;     Parent Loop BB39_8 Depth=2
                                        ; =>    This Loop Header: Depth=3
                                        ;         Child Loop BB39_14 Depth 4
	s_and_not1_b32 vcc_lo, exec_lo, s33
	s_cbranch_vccnz .LBB39_10
; %bb.12:                               ;   in Loop: Header=BB39_11 Depth=3
	s_mul_i32 s0, s70, s27
	s_mov_b64 s[60:61], s[58:59]
	s_sub_co_i32 s0, s0, s47
	s_mov_b32 s72, s26
	v_add_nc_u32_e32 v2, s0, v9
	s_delay_alu instid0(VALU_DEP_1)
	v_mul_u64_e32 v[14:15], s[6:7], v[2:3]
	v_cmp_gt_i32_e32 vcc_lo, 0, v2
	v_cmp_le_i32_e64 s0, s20, v2
	v_mov_b32_e32 v2, v17
	s_or_b32 s71, vcc_lo, s0
	v_lshl_add_u64 v[14:15], v[14:15], 1, v[12:13]
	s_branch .LBB39_14
.LBB39_13:                              ;   in Loop: Header=BB39_14 Depth=4
	s_wait_xcnt 0x0
	s_or_b32 exec_lo, exec_lo, s0
	v_add_nc_u32_e32 v2, s44, v2
	s_add_co_i32 s72, s72, -1
	s_add_nc_u64 s[60:61], s[60:61], s[48:49]
	s_cmp_eq_u32 s72, 0
	s_cbranch_scc1 .LBB39_10
.LBB39_14:                              ;   Parent Loop BB39_3 Depth=1
                                        ;     Parent Loop BB39_8 Depth=2
                                        ;       Parent Loop BB39_11 Depth=3
                                        ; =>      This Inner Loop Header: Depth=4
	s_delay_alu instid0(VALU_DEP_2) | instskip(SKIP_2) | instid1(SALU_CYCLE_1)
	v_cmp_gt_i32_e32 vcc_lo, 0, v2
	v_cmp_le_i32_e64 s0, s21, v2
	s_or_b32 s0, vcc_lo, s0
	s_nor_b32 s73, s71, s0
	s_delay_alu instid0(SALU_CYCLE_1)
	s_and_saveexec_b32 s0, s73
	s_cbranch_execz .LBB39_13
; %bb.15:                               ;   in Loop: Header=BB39_14 Depth=4
	v_mul_u64_e32 v[18:19], s[4:5], v[2:3]
	s_delay_alu instid0(VALU_DEP_1)
	v_lshl_add_u64 v[18:19], v[18:19], 1, v[14:15]
	global_load_u16 v18, v[18:19], off
	global_load_u16 v19, v3, s[60:61]
	s_wait_loadcnt 0x1
	v_cvt_f32_f16_e32 v18, v18
	s_wait_loadcnt 0x0
	v_cvt_f32_f16_e32 v20, v19
	s_delay_alu instid0(VALU_DEP_2) | instskip(NEXT) | instid1(VALU_DEP_2)
	v_cvt_f64_f32_e32 v[18:19], v18
	v_cvt_f64_f32_e32 v[20:21], v20
	s_delay_alu instid0(VALU_DEP_1)
	v_fmac_f64_e32 v[4:5], v[18:19], v[20:21]
	s_branch .LBB39_13
.LBB39_16:                              ;   in Loop: Header=BB39_3 Depth=1
	s_delay_alu instid0(VALU_DEP_2) | instskip(SKIP_2) | instid1(VALU_DEP_1)
	v_ashrrev_i32_e32 v9, 31, v8
	s_and_b32 vcc_lo, exec_lo, s65
	s_mov_b32 s0, -1
	v_mul_u64_e32 v[8:9], s[14:15], v[8:9]
	s_delay_alu instid0(VALU_DEP_1) | instskip(NEXT) | instid1(VALU_DEP_1)
	v_mad_nc_u64_u32 v[8:9], s16, v16, v[8:9]
	v_mad_u32 v2, s17, v16, v9
	v_ashrrev_i32_e32 v9, 31, v16
	s_delay_alu instid0(VALU_DEP_1) | instskip(NEXT) | instid1(VALU_DEP_1)
	v_mad_u32 v9, s16, v9, v2
	v_mad_nc_u64_u32 v[8:9], v6, s18, v[8:9]
	s_delay_alu instid0(VALU_DEP_1) | instskip(NEXT) | instid1(VALU_DEP_1)
	v_mad_u32 v2, v7, s18, v9
	v_mad_u32 v9, v6, s19, v2
	s_delay_alu instid0(VALU_DEP_1)
	v_lshl_add_u64 v[6:7], v[8:9], 1, s[34:35]
	s_cbranch_vccz .LBB39_18
; %bb.17:                               ;   in Loop: Header=BB39_3 Depth=1
	global_load_u16 v2, v[6:7], off
	s_mov_b32 s0, 0
	s_wait_loadcnt 0x0
	v_cvt_f32_f16_e32 v2, v2
	s_delay_alu instid0(VALU_DEP_1) | instskip(NEXT) | instid1(VALU_DEP_1)
	v_cvt_f64_f32_e32 v[8:9], v2
	v_mul_f64_e32 v[8:9], s[42:43], v[8:9]
	s_delay_alu instid0(VALU_DEP_1) | instskip(NEXT) | instid1(VALU_DEP_1)
	v_fmac_f64_e32 v[8:9], s[40:41], v[4:5]
	v_and_or_b32 v2, 0x1ff, v9, v8
	v_lshrrev_b32_e32 v8, 8, v9
	v_bfe_u32 v10, v9, 20, 11
	s_delay_alu instid0(VALU_DEP_3) | instskip(NEXT) | instid1(VALU_DEP_2)
	v_cmp_ne_u32_e32 vcc_lo, 0, v2
	v_sub_nc_u32_e32 v11, 0x3f1, v10
	v_add_nc_u32_e32 v10, 0xfffffc10, v10
	v_cndmask_b32_e64 v2, 0, 1, vcc_lo
	s_delay_alu instid0(VALU_DEP_1) | instskip(NEXT) | instid1(VALU_DEP_4)
	v_and_or_b32 v2, 0xffe, v8, v2
	v_med3_i32 v8, v11, 0, 13
	s_delay_alu instid0(VALU_DEP_2) | instskip(NEXT) | instid1(VALU_DEP_1)
	v_or_b32_e32 v11, 0x1000, v2
	v_lshrrev_b32_e32 v12, v8, v11
	s_delay_alu instid0(VALU_DEP_1) | instskip(NEXT) | instid1(VALU_DEP_1)
	v_lshlrev_b32_e32 v8, v8, v12
	v_cmp_ne_u32_e32 vcc_lo, v8, v11
	v_lshl_or_b32 v11, v10, 12, v2
	v_cndmask_b32_e64 v8, 0, 1, vcc_lo
	v_cmp_gt_i32_e32 vcc_lo, 1, v10
	s_delay_alu instid0(VALU_DEP_2) | instskip(NEXT) | instid1(VALU_DEP_1)
	v_or_b32_e32 v8, v12, v8
	v_cndmask_b32_e32 v8, v11, v8, vcc_lo
	s_delay_alu instid0(VALU_DEP_1) | instskip(NEXT) | instid1(VALU_DEP_1)
	v_dual_lshrrev_b32 v8, 2, v8 :: v_dual_bitop2_b32 v11, 7, v8 bitop3:0x40
	v_cmp_lt_i32_e32 vcc_lo, 5, v11
	v_cndmask_b32_e64 v12, 0, 1, vcc_lo
	v_cmp_eq_u32_e32 vcc_lo, 3, v11
	v_cndmask_b32_e64 v11, 0, 1, vcc_lo
	v_cmp_ne_u32_e32 vcc_lo, 0, v2
	s_delay_alu instid0(VALU_DEP_2) | instskip(SKIP_2) | instid1(VALU_DEP_3)
	v_or_b32_e32 v11, v11, v12
	v_cndmask_b32_e32 v2, 0x7c00, v1, vcc_lo
	v_cmp_gt_i32_e32 vcc_lo, 31, v10
	v_add_nc_u32_e32 v8, v8, v11
	s_delay_alu instid0(VALU_DEP_1) | instskip(SKIP_1) | instid1(VALU_DEP_2)
	v_cndmask_b32_e32 v8, 0x7c00, v8, vcc_lo
	v_cmp_eq_u32_e32 vcc_lo, 0x40f, v10
	v_dual_cndmask_b32 v2, v8, v2, vcc_lo :: v_dual_lshrrev_b32 v8, 16, v9
	s_delay_alu instid0(VALU_DEP_1)
	v_and_or_b32 v2, 0x8000, v8, v2
	global_store_b16 v[6:7], v2, off
.LBB39_18:                              ;   in Loop: Header=BB39_3 Depth=1
	s_and_not1_b32 vcc_lo, exec_lo, s0
	s_cbranch_vccnz .LBB39_2
; %bb.19:                               ;   in Loop: Header=BB39_3 Depth=1
	s_wait_xcnt 0x0
	v_and_or_b32 v2, 0x1ff, v5, v4
	v_lshrrev_b32_e32 v4, 8, v5
	v_bfe_u32 v8, v5, 20, 11
	s_delay_alu instid0(VALU_DEP_3) | instskip(NEXT) | instid1(VALU_DEP_2)
	v_cmp_ne_u32_e32 vcc_lo, 0, v2
	v_sub_nc_u32_e32 v9, 0x3f1, v8
	v_add_nc_u32_e32 v8, 0xfffffc10, v8
	v_cndmask_b32_e64 v2, 0, 1, vcc_lo
	s_delay_alu instid0(VALU_DEP_1) | instskip(NEXT) | instid1(VALU_DEP_4)
	v_and_or_b32 v2, 0xffe, v4, v2
	v_med3_i32 v4, v9, 0, 13
	s_delay_alu instid0(VALU_DEP_2) | instskip(NEXT) | instid1(VALU_DEP_1)
	v_or_b32_e32 v9, 0x1000, v2
	v_lshrrev_b32_e32 v10, v4, v9
	s_delay_alu instid0(VALU_DEP_1) | instskip(NEXT) | instid1(VALU_DEP_1)
	v_lshlrev_b32_e32 v4, v4, v10
	v_cmp_ne_u32_e32 vcc_lo, v4, v9
	v_lshl_or_b32 v9, v8, 12, v2
	v_cndmask_b32_e64 v4, 0, 1, vcc_lo
	v_cmp_gt_i32_e32 vcc_lo, 1, v8
	s_delay_alu instid0(VALU_DEP_2) | instskip(NEXT) | instid1(VALU_DEP_1)
	v_or_b32_e32 v4, v10, v4
	v_cndmask_b32_e32 v4, v9, v4, vcc_lo
	s_delay_alu instid0(VALU_DEP_1) | instskip(NEXT) | instid1(VALU_DEP_1)
	v_dual_lshrrev_b32 v4, 2, v4 :: v_dual_bitop2_b32 v9, 7, v4 bitop3:0x40
	v_cmp_lt_i32_e32 vcc_lo, 5, v9
	v_cndmask_b32_e64 v10, 0, 1, vcc_lo
	v_cmp_eq_u32_e32 vcc_lo, 3, v9
	v_cndmask_b32_e64 v9, 0, 1, vcc_lo
	v_cmp_ne_u32_e32 vcc_lo, 0, v2
	s_delay_alu instid0(VALU_DEP_2) | instskip(SKIP_2) | instid1(VALU_DEP_3)
	v_or_b32_e32 v9, v9, v10
	v_cndmask_b32_e32 v2, 0x7c00, v1, vcc_lo
	v_cmp_gt_i32_e32 vcc_lo, 31, v8
	v_add_nc_u32_e32 v4, v4, v9
	s_delay_alu instid0(VALU_DEP_1) | instskip(SKIP_1) | instid1(VALU_DEP_2)
	v_cndmask_b32_e32 v4, 0x7c00, v4, vcc_lo
	v_cmp_eq_u32_e32 vcc_lo, 0x40f, v8
	v_dual_cndmask_b32 v2, v4, v2, vcc_lo :: v_dual_lshrrev_b32 v4, 16, v5
	s_delay_alu instid0(VALU_DEP_1)
	v_and_or_b32 v2, 0x8000, v4, v2
	global_store_b16 v[6:7], v2, off
	s_branch .LBB39_2
.LBB39_20:
	s_endpgm
	.section	.rodata,"a",@progbits
	.p2align	6, 0x0
	.amdhsa_kernel naive_conv_ab_nonpacked_wrw_nchw_half_double_half
		.amdhsa_group_segment_fixed_size 0
		.amdhsa_private_segment_fixed_size 0
		.amdhsa_kernarg_size 480
		.amdhsa_user_sgpr_count 2
		.amdhsa_user_sgpr_dispatch_ptr 0
		.amdhsa_user_sgpr_queue_ptr 0
		.amdhsa_user_sgpr_kernarg_segment_ptr 1
		.amdhsa_user_sgpr_dispatch_id 0
		.amdhsa_user_sgpr_kernarg_preload_length 0
		.amdhsa_user_sgpr_kernarg_preload_offset 0
		.amdhsa_user_sgpr_private_segment_size 0
		.amdhsa_wavefront_size32 1
		.amdhsa_uses_dynamic_stack 0
		.amdhsa_enable_private_segment 0
		.amdhsa_system_sgpr_workgroup_id_x 1
		.amdhsa_system_sgpr_workgroup_id_y 0
		.amdhsa_system_sgpr_workgroup_id_z 0
		.amdhsa_system_sgpr_workgroup_info 0
		.amdhsa_system_vgpr_workitem_id 0
		.amdhsa_next_free_vgpr 22
		.amdhsa_next_free_sgpr 74
		.amdhsa_named_barrier_count 0
		.amdhsa_reserve_vcc 1
		.amdhsa_float_round_mode_32 0
		.amdhsa_float_round_mode_16_64 0
		.amdhsa_float_denorm_mode_32 3
		.amdhsa_float_denorm_mode_16_64 3
		.amdhsa_fp16_overflow 0
		.amdhsa_memory_ordered 1
		.amdhsa_forward_progress 1
		.amdhsa_inst_pref_size 16
		.amdhsa_round_robin_scheduling 0
		.amdhsa_exception_fp_ieee_invalid_op 0
		.amdhsa_exception_fp_denorm_src 0
		.amdhsa_exception_fp_ieee_div_zero 0
		.amdhsa_exception_fp_ieee_overflow 0
		.amdhsa_exception_fp_ieee_underflow 0
		.amdhsa_exception_fp_ieee_inexact 0
		.amdhsa_exception_int_div_zero 0
	.end_amdhsa_kernel
	.text
.Lfunc_end39:
	.size	naive_conv_ab_nonpacked_wrw_nchw_half_double_half, .Lfunc_end39-naive_conv_ab_nonpacked_wrw_nchw_half_double_half
                                        ; -- End function
	.set naive_conv_ab_nonpacked_wrw_nchw_half_double_half.num_vgpr, 22
	.set naive_conv_ab_nonpacked_wrw_nchw_half_double_half.num_agpr, 0
	.set naive_conv_ab_nonpacked_wrw_nchw_half_double_half.numbered_sgpr, 74
	.set naive_conv_ab_nonpacked_wrw_nchw_half_double_half.num_named_barrier, 0
	.set naive_conv_ab_nonpacked_wrw_nchw_half_double_half.private_seg_size, 0
	.set naive_conv_ab_nonpacked_wrw_nchw_half_double_half.uses_vcc, 1
	.set naive_conv_ab_nonpacked_wrw_nchw_half_double_half.uses_flat_scratch, 0
	.set naive_conv_ab_nonpacked_wrw_nchw_half_double_half.has_dyn_sized_stack, 0
	.set naive_conv_ab_nonpacked_wrw_nchw_half_double_half.has_recursion, 0
	.set naive_conv_ab_nonpacked_wrw_nchw_half_double_half.has_indirect_call, 0
	.section	.AMDGPU.csdata,"",@progbits
; Kernel info:
; codeLenInByte = 2016
; TotalNumSgprs: 76
; NumVgprs: 22
; ScratchSize: 0
; MemoryBound: 0
; FloatMode: 240
; IeeeMode: 1
; LDSByteSize: 0 bytes/workgroup (compile time only)
; SGPRBlocks: 0
; VGPRBlocks: 1
; NumSGPRsForWavesPerEU: 76
; NumVGPRsForWavesPerEU: 22
; NamedBarCnt: 0
; Occupancy: 16
; WaveLimiterHint : 0
; COMPUTE_PGM_RSRC2:SCRATCH_EN: 0
; COMPUTE_PGM_RSRC2:USER_SGPR: 2
; COMPUTE_PGM_RSRC2:TRAP_HANDLER: 0
; COMPUTE_PGM_RSRC2:TGID_X_EN: 1
; COMPUTE_PGM_RSRC2:TGID_Y_EN: 0
; COMPUTE_PGM_RSRC2:TGID_Z_EN: 0
; COMPUTE_PGM_RSRC2:TIDIG_COMP_CNT: 0
	.text
	.protected	naive_conv_ab_packed_wrw_nchw_ushort_double_ushort ; -- Begin function naive_conv_ab_packed_wrw_nchw_ushort_double_ushort
	.globl	naive_conv_ab_packed_wrw_nchw_ushort_double_ushort
	.p2align	8
	.type	naive_conv_ab_packed_wrw_nchw_ushort_double_ushort,@function
naive_conv_ab_packed_wrw_nchw_ushort_double_ushort: ; @naive_conv_ab_packed_wrw_nchw_ushort_double_ushort
; %bb.0:
	s_load_b512 s[4:19], s[0:1], 0xa0
	s_bfe_u32 s2, ttmp6, 0x4000c
	s_and_b32 s3, ttmp6, 15
	s_add_co_i32 s2, s2, 1
	s_getreg_b32 s20, hwreg(HW_REG_IB_STS2, 6, 4)
	s_mul_i32 s2, ttmp9, s2
	s_delay_alu instid0(SALU_CYCLE_1)
	s_add_co_i32 s3, s3, s2
	s_cmp_eq_u32 s20, 0
	s_mov_b32 s20, exec_lo
	s_cselect_b32 s34, ttmp9, s3
	s_mov_b32 s3, 0
	s_wait_kmcnt 0x0
	s_abs_i32 s29, s7
	s_mul_i32 s40, s18, s17
	s_cvt_f32_u32 s2, s29
	s_mul_i32 s33, s40, s8
	s_delay_alu instid0(SALU_CYCLE_2) | instskip(SKIP_1) | instid1(TRANS32_DEP_1)
	v_rcp_iflag_f32_e32 v1, s2
	v_nop
	v_readfirstlane_b32 s2, v1
	v_cmpx_gt_i32_e64 s33, v0
	s_cbranch_execz .LBB40_20
; %bb.1:
	s_mul_f32 s2, s2, 0x4f7ffffe
	s_mov_b32 s31, s3
	s_ashr_i32 s35, s34, 31
	s_ashr_i32 s37, s7, 31
	s_cvt_u32_f32 s28, s2
	s_sub_co_i32 s2, 0, s29
	s_xor_b32 s35, s35, s37
	s_load_b256 s[20:27], s[0:1], 0x0
	s_mul_i32 s30, s2, s28
	s_abs_i32 s2, s34
	s_mul_hi_u32 s30, s28, s30
	s_mov_b32 s38, s8
	s_add_co_i32 s30, s28, s30
	s_mov_b32 s28, s4
	s_mul_u64 s[30:31], s[2:3], s[30:31]
	s_clause 0x1
	s_load_b64 s[58:59], s[0:1], 0x20
	s_load_b32 s55, s[0:1], 0xec
	s_mul_i32 s30, s31, s29
	s_add_co_i32 s36, s31, 1
	s_sub_co_i32 s2, s2, s30
	s_mov_b32 s30, s5
	s_sub_co_i32 s39, s2, s29
	s_cmp_ge_u32 s2, s29
	s_mul_i32 s52, s19, s8
	s_cselect_b32 s31, s36, s31
	s_cselect_b32 s2, s39, s2
	s_add_co_i32 s39, s31, 1
	s_cmp_ge_u32 s2, s29
	s_mov_b32 s36, s7
	s_cselect_b32 s2, s39, s31
	s_ashr_i32 s29, s4, 31
	s_xor_b32 s2, s2, s35
	s_ashr_i32 s31, s5, 31
	s_sub_co_i32 s42, s2, s35
	s_ashr_i32 s39, s8, 31
	s_mul_u64 s[4:5], s[30:31], s[28:29]
	s_mul_i32 s2, s42, s7
	s_mul_u64 s[44:45], s[4:5], s[38:39]
	s_ashr_i32 s43, s42, 31
	s_sub_co_i32 s46, s34, s2
	s_ashr_i32 s5, s17, 31
	s_mov_b32 s4, s17
	s_mul_u64 s[36:37], s[42:43], s[36:37]
	s_ashr_i32 s35, s18, 31
	s_mov_b32 s34, s18
	s_ashr_i32 s47, s46, 31
	s_mul_u64 s[48:49], s[4:5], s[38:39]
	s_add_nc_u64 s[38:39], s[36:37], s[46:47]
	s_mul_u64 s[36:37], s[48:49], s[34:35]
	s_wait_kmcnt 0x0
	v_cmp_neq_f64_e64 s2, s[24:25], 1.0
	v_cmp_neq_f64_e64 s41, s[26:27], 0
	s_mul_u64 s[42:43], s[44:45], s[42:43]
	s_mul_u64 s[36:37], s[36:37], s[38:39]
	s_lshl_b64 s[44:45], s[42:43], 1
	s_lshl_b64 s[46:47], s[36:37], 1
	s_ashr_i32 s37, s9, 31
	s_ashr_i32 s43, s10, 31
	s_cmp_lt_i32 s6, 1
	s_mov_b32 s36, s9
	s_cselect_b32 s48, -1, 0
	s_cmp_gt_i32 s9, 0
	s_mov_b32 s42, s10
	s_cselect_b32 s49, -1, 0
	s_cmp_gt_i32 s10, 0
	s_add_nc_u64 s[20:21], s[20:21], s[44:45]
	s_cselect_b32 s50, -1, 0
	s_abs_i32 s51, s18
	s_abs_i32 s1, s17
	s_cvt_f32_u32 s18, s51
	s_cvt_f32_u32 s0, s1
	s_abs_i32 s53, s40
	s_mul_i32 s44, s19, s7
	v_rcp_iflag_f32_e32 v1, s18
	v_rcp_iflag_f32_e32 v2, s0
	s_cvt_f32_u32 s8, s53
	s_ashr_i32 s56, s40, 31
	s_ashr_i32 s45, s44, 31
	v_mov_b32_e32 v3, 0
	s_add_nc_u64 s[22:23], s[22:23], s[46:47]
	v_readfirstlane_b32 s0, v1
	v_rcp_iflag_f32_e32 v1, s8
	v_readfirstlane_b32 s9, v2
	s_or_b32 s54, s2, s41
	s_sub_co_i32 s8, 0, s51
	s_mul_f32 s0, s0, 0x4f7ffffe
	s_mul_u64 s[40:41], s[42:43], s[36:37]
	s_mul_f32 s2, s9, 0x4f7ffffe
	v_readfirstlane_b32 s9, v1
	s_cvt_u32_f32 s0, s0
	s_mul_u64 s[38:39], s[40:41], s[38:39]
	s_cvt_u32_f32 s17, s2
	s_lshl_b64 s[38:39], s[38:39], 1
	s_mul_i32 s8, s8, s0
	s_mul_f32 s9, s9, 0x4f7ffffe
	s_mul_hi_u32 s2, s0, s8
	s_sub_co_i32 s8, 0, s1
	s_add_co_i32 s2, s0, s2
	s_mul_i32 s8, s8, s17
	s_cvt_u32_f32 s18, s9
	s_mul_hi_u32 s0, s17, s8
	s_mul_u64 s[40:41], s[40:41], s[44:45]
	s_add_co_i32 s8, s17, s0
	s_sub_co_i32 s0, 0, s53
	s_ashr_i32 s7, s52, 31
	s_mul_i32 s0, s0, s18
	s_and_b32 s55, s55, 0xffff
	s_mul_hi_u32 s0, s18, s0
	s_mov_b32 s9, s3
	s_add_co_i32 s18, s18, s0
	s_mov_b32 s19, s3
	s_add_nc_u64 s[38:39], s[58:59], s[38:39]
	s_lshl_b64 s[40:41], s[40:41], 1
	s_lshl_b64 s[42:43], s[42:43], 1
	s_sub_co_i32 s37, 0, s16
	s_mov_b32 s57, s3
	s_branch .LBB40_3
.LBB40_2:                               ;   in Loop: Header=BB40_3 Depth=1
	v_add_nc_u32_e32 v0, s55, v0
	s_delay_alu instid0(VALU_DEP_1)
	v_cmp_le_i32_e32 vcc_lo, s33, v0
	s_or_b32 s57, vcc_lo, s57
	s_wait_xcnt 0x0
	s_and_not1_b32 exec_lo, exec_lo, s57
	s_cbranch_execz .LBB40_20
.LBB40_3:                               ; =>This Loop Header: Depth=1
                                        ;     Child Loop BB40_8 Depth 2
                                        ;       Child Loop BB40_11 Depth 3
                                        ;         Child Loop BB40_14 Depth 4
	v_sub_nc_u32_e32 v1, 0, v0
	s_mov_b32 s16, -1
	v_dual_mov_b32 v7, v3 :: v_dual_ashrrev_i32 v10, 31, v0
	s_delay_alu instid0(VALU_DEP_2) | instskip(NEXT) | instid1(VALU_DEP_1)
	v_max_i32_e32 v2, v0, v1
	v_mul_u64_e32 v[4:5], s[2:3], v[2:3]
	s_delay_alu instid0(VALU_DEP_1) | instskip(SKIP_1) | instid1(VALU_DEP_2)
	v_mul_lo_u32 v1, v5, s51
	v_add_nc_u32_e32 v4, 1, v5
	v_sub_nc_u32_e32 v1, v2, v1
	s_delay_alu instid0(VALU_DEP_1) | instskip(SKIP_1) | instid1(VALU_DEP_4)
	v_subrev_nc_u32_e32 v6, s51, v1
	v_cmp_le_u32_e32 vcc_lo, s51, v1
	v_cndmask_b32_e32 v4, v5, v4, vcc_lo
	s_delay_alu instid0(VALU_DEP_1) | instskip(NEXT) | instid1(VALU_DEP_1)
	v_dual_cndmask_b32 v1, v1, v6, vcc_lo :: v_dual_add_nc_u32 v5, 1, v4
	v_cmp_le_u32_e32 vcc_lo, s51, v1
	s_delay_alu instid0(VALU_DEP_2) | instskip(SKIP_1) | instid1(VALU_DEP_2)
	v_dual_cndmask_b32 v1, v4, v5, vcc_lo :: v_dual_bitop2_b32 v6, s35, v10 bitop3:0x14
	v_mul_u64_e32 v[4:5], s[18:19], v[2:3]
	v_xor_b32_e32 v1, v1, v6
	s_delay_alu instid0(VALU_DEP_1) | instskip(NEXT) | instid1(VALU_DEP_1)
	v_sub_nc_u32_e32 v1, v1, v6
	v_sub_nc_u32_e32 v4, 0, v1
	s_delay_alu instid0(VALU_DEP_1) | instskip(SKIP_1) | instid1(VALU_DEP_1)
	v_max_i32_e32 v6, v1, v4
	v_mul_lo_u32 v4, v5, s53
	v_dual_sub_nc_u32 v2, v2, v4 :: v_dual_add_nc_u32 v4, 1, v5
	s_delay_alu instid0(VALU_DEP_3) | instskip(NEXT) | instid1(VALU_DEP_2)
	v_mul_u64_e32 v[8:9], s[8:9], v[6:7]
	v_subrev_nc_u32_e32 v8, s53, v2
	v_cmp_le_u32_e32 vcc_lo, s53, v2
	s_delay_alu instid0(VALU_DEP_4) | instskip(NEXT) | instid1(VALU_DEP_3)
	v_cndmask_b32_e32 v4, v5, v4, vcc_lo
	v_dual_cndmask_b32 v2, v2, v8, vcc_lo :: v_dual_bitop2_b32 v8, s56, v10 bitop3:0x14
	s_delay_alu instid0(VALU_DEP_1) | instskip(SKIP_1) | instid1(VALU_DEP_1)
	v_cmp_le_u32_e32 vcc_lo, s53, v2
	v_mul_lo_u32 v7, v9, s1
	v_dual_add_nc_u32 v5, 1, v4 :: v_dual_sub_nc_u32 v6, v6, v7
	s_delay_alu instid0(VALU_DEP_1) | instskip(NEXT) | instid1(VALU_DEP_2)
	v_cndmask_b32_e32 v2, v4, v5, vcc_lo
	v_subrev_nc_u32_e32 v4, s1, v6
	s_delay_alu instid0(VALU_DEP_2) | instskip(SKIP_1) | instid1(VALU_DEP_3)
	v_xor_b32_e32 v5, v2, v8
	v_cmp_le_u32_e32 vcc_lo, s1, v6
	v_cndmask_b32_e32 v2, v6, v4, vcc_lo
	s_delay_alu instid0(VALU_DEP_3) | instskip(SKIP_1) | instid1(VALU_DEP_2)
	v_sub_nc_u32_e32 v6, v5, v8
	s_and_not1_b32 vcc_lo, exec_lo, s48
	v_cmp_le_u32_e64 s0, s1, v2
	s_delay_alu instid0(VALU_DEP_2)
	v_ashrrev_i32_e32 v7, 31, v6
	s_cbranch_vccnz .LBB40_5
; %bb.4:                                ;   in Loop: Header=BB40_3 Depth=1
	s_mov_b32 s16, 0
.LBB40_5:                               ;   in Loop: Header=BB40_3 Depth=1
	v_subrev_nc_u32_e32 v4, s1, v2
	v_mul_lo_u32 v8, v1, s34
	v_ashrrev_i32_e32 v1, 31, v1
	s_and_not1_b32 vcc_lo, exec_lo, s16
	s_delay_alu instid0(VALU_DEP_3) | instskip(SKIP_1) | instid1(VALU_DEP_2)
	v_cndmask_b32_e64 v2, v2, v4, s0
	v_mov_b64_e32 v[4:5], 0
	v_dual_sub_nc_u32 v8, v0, v8 :: v_dual_bitop2_b32 v2, v2, v1 bitop3:0x14
	s_delay_alu instid0(VALU_DEP_1)
	v_sub_nc_u32_e32 v10, v2, v1
	s_cbranch_vccnz .LBB40_16
; %bb.6:                                ;   in Loop: Header=BB40_3 Depth=1
	s_delay_alu instid0(VALU_DEP_1) | instskip(NEXT) | instid1(VALU_DEP_3)
	v_mul_lo_u32 v1, v10, s13
	v_mad_u32 v9, v8, s14, s37
	v_mov_b64_e32 v[4:5], 0
	s_mov_b32 s58, 0
	s_mov_b64 s[16:17], s[38:39]
	s_branch .LBB40_8
.LBB40_7:                               ;   in Loop: Header=BB40_8 Depth=2
	s_add_co_i32 s58, s58, 1
	s_add_nc_u64 s[16:17], s[16:17], s[40:41]
	s_cmp_eq_u32 s58, s6
	s_cbranch_scc1 .LBB40_16
.LBB40_8:                               ;   Parent Loop BB40_3 Depth=1
                                        ; =>  This Loop Header: Depth=2
                                        ;       Child Loop BB40_11 Depth 3
                                        ;         Child Loop BB40_14 Depth 4
	s_and_not1_b32 vcc_lo, exec_lo, s49
	s_cbranch_vccnz .LBB40_7
; %bb.9:                                ;   in Loop: Header=BB40_8 Depth=2
	v_mad_nc_u64_u32 v[12:13], s58, s52, v[6:7]
	s_mov_b32 s59, 0
	s_mov_b64 s[44:45], s[16:17]
	s_delay_alu instid0(VALU_DEP_1) | instskip(NEXT) | instid1(VALU_DEP_1)
	v_mad_u32 v13, s58, s7, v13
	v_mul_u64_e32 v[12:13], s[28:29], v[12:13]
	s_branch .LBB40_11
.LBB40_10:                              ;   in Loop: Header=BB40_11 Depth=3
	s_add_co_i32 s59, s59, 1
	s_add_nc_u64 s[44:45], s[44:45], s[42:43]
	s_cmp_eq_u32 s59, s36
	s_cbranch_scc1 .LBB40_7
.LBB40_11:                              ;   Parent Loop BB40_3 Depth=1
                                        ;     Parent Loop BB40_8 Depth=2
                                        ; =>    This Loop Header: Depth=3
                                        ;         Child Loop BB40_14 Depth 4
	s_and_not1_b32 vcc_lo, exec_lo, s50
	s_cbranch_vccnz .LBB40_10
; %bb.12:                               ;   in Loop: Header=BB40_11 Depth=3
	s_mul_i32 s0, s59, s11
	s_mov_b64 s[46:47], s[44:45]
	s_sub_co_i32 s0, s0, s15
	s_mov_b32 s61, s10
	v_add_nc_u32_e32 v2, s0, v1
	s_delay_alu instid0(VALU_DEP_1)
	v_add_nc_u64_e32 v[14:15], v[12:13], v[2:3]
	v_cmp_gt_i32_e32 vcc_lo, 0, v2
	v_cmp_le_i32_e64 s0, s28, v2
	v_mov_b32_e32 v2, v9
	s_or_b32 s60, vcc_lo, s0
	v_mul_u64_e32 v[14:15], s[30:31], v[14:15]
	s_delay_alu instid0(VALU_DEP_1)
	v_lshl_add_u64 v[14:15], v[14:15], 1, s[20:21]
	s_branch .LBB40_14
.LBB40_13:                              ;   in Loop: Header=BB40_14 Depth=4
	s_or_b32 exec_lo, exec_lo, s0
	v_add_nc_u32_e32 v2, s12, v2
	s_add_co_i32 s61, s61, -1
	s_add_nc_u64 s[46:47], s[46:47], 2
	s_cmp_eq_u32 s61, 0
	s_cbranch_scc1 .LBB40_10
.LBB40_14:                              ;   Parent Loop BB40_3 Depth=1
                                        ;     Parent Loop BB40_8 Depth=2
                                        ;       Parent Loop BB40_11 Depth=3
                                        ; =>      This Inner Loop Header: Depth=4
	v_cmp_gt_i32_e32 vcc_lo, 0, v2
	v_cmp_le_i32_e64 s0, s30, v2
	s_or_b32 s0, vcc_lo, s0
	s_delay_alu instid0(SALU_CYCLE_1) | instskip(NEXT) | instid1(SALU_CYCLE_1)
	s_nor_b32 s62, s60, s0
	s_and_saveexec_b32 s0, s62
	s_cbranch_execz .LBB40_13
; %bb.15:                               ;   in Loop: Header=BB40_14 Depth=4
	v_lshl_add_u64 v[16:17], v[2:3], 1, v[14:15]
	s_load_u16 s62, s[46:47], 0x0
	global_load_u16 v11, v[16:17], off
	s_wait_kmcnt 0x0
	s_lshl_b32 s62, s62, 16
	s_wait_xcnt 0x0
	v_cvt_f64_f32_e32 v[16:17], s62
	s_wait_loadcnt 0x0
	v_lshlrev_b32_e32 v11, 16, v11
	s_delay_alu instid0(VALU_DEP_1) | instskip(NEXT) | instid1(VALU_DEP_1)
	v_cvt_f64_f32_e32 v[18:19], v11
	v_fmac_f64_e32 v[4:5], v[18:19], v[16:17]
	s_branch .LBB40_13
.LBB40_16:                              ;   in Loop: Header=BB40_3 Depth=1
	s_delay_alu instid0(VALU_DEP_1) | instskip(SKIP_2) | instid1(VALU_DEP_1)
	v_dual_ashrrev_i32 v11, 31, v10 :: v_dual_ashrrev_i32 v9, 31, v8
	s_and_b32 vcc_lo, exec_lo, s54
	s_mov_b32 s0, -1
	v_mad_nc_u64_u32 v[10:11], v6, s4, v[10:11]
	s_delay_alu instid0(VALU_DEP_1) | instskip(NEXT) | instid1(VALU_DEP_1)
	v_mad_u32 v1, v7, s4, v11
	v_mad_u32 v1, v6, s5, v1
	s_delay_alu instid0(VALU_DEP_3) | instskip(NEXT) | instid1(VALU_DEP_1)
	v_mad_nc_u64_u32 v[6:7], v10, s34, v[8:9]
	v_mad_u32 v1, v1, s34, v7
	s_delay_alu instid0(VALU_DEP_1) | instskip(NEXT) | instid1(VALU_DEP_1)
	v_mad_u32 v7, v10, s35, v1
	v_lshl_add_u64 v[6:7], v[6:7], 1, s[22:23]
	s_cbranch_vccz .LBB40_18
; %bb.17:                               ;   in Loop: Header=BB40_3 Depth=1
	global_load_u16 v1, v[6:7], off
	s_wait_loadcnt 0x0
	v_lshlrev_b32_e32 v1, 16, v1
	s_delay_alu instid0(VALU_DEP_1) | instskip(NEXT) | instid1(VALU_DEP_1)
	v_cvt_f64_f32_e32 v[8:9], v1
	v_mul_f64_e32 v[8:9], s[26:27], v[8:9]
	s_delay_alu instid0(VALU_DEP_1) | instskip(NEXT) | instid1(VALU_DEP_1)
	v_fmac_f64_e32 v[8:9], s[24:25], v[4:5]
	v_cvt_f32_f64_e32 v1, v[8:9]
	s_delay_alu instid0(VALU_DEP_1) | instskip(SKIP_2) | instid1(VALU_DEP_3)
	v_and_b32_e32 v2, 0x7f800000, v1
	v_and_b32_e32 v8, 0xffff, v1
	v_lshrrev_b32_e32 v1, 16, v1
	v_cmp_eq_u32_e32 vcc_lo, 0x7f800000, v2
	s_delay_alu instid0(VALU_DEP_3) | instskip(SKIP_1) | instid1(SALU_CYCLE_1)
	v_cmp_ne_u32_e64 s0, 0, v8
	s_and_b32 s0, vcc_lo, s0
	v_cndmask_b32_e64 v2, 0, 1, s0
	s_mov_b32 s0, 0
	s_delay_alu instid0(VALU_DEP_1)
	v_or_b32_e32 v1, v1, v2
	global_store_b16 v[6:7], v1, off
.LBB40_18:                              ;   in Loop: Header=BB40_3 Depth=1
	s_and_not1_b32 vcc_lo, exec_lo, s0
	s_cbranch_vccnz .LBB40_2
; %bb.19:                               ;   in Loop: Header=BB40_3 Depth=1
	s_wait_xcnt 0x0
	v_cvt_f32_f64_e32 v1, v[4:5]
	s_delay_alu instid0(VALU_DEP_1) | instskip(SKIP_2) | instid1(VALU_DEP_3)
	v_and_b32_e32 v2, 0x7f800000, v1
	v_and_b32_e32 v4, 0xffff, v1
	v_lshrrev_b32_e32 v1, 16, v1
	v_cmp_eq_u32_e32 vcc_lo, 0x7f800000, v2
	s_delay_alu instid0(VALU_DEP_3) | instskip(SKIP_1) | instid1(SALU_CYCLE_1)
	v_cmp_ne_u32_e64 s0, 0, v4
	s_and_b32 s0, vcc_lo, s0
	v_cndmask_b32_e64 v2, 0, 1, s0
	s_delay_alu instid0(VALU_DEP_1)
	v_or_b32_e32 v1, v1, v2
	global_store_b16 v[6:7], v1, off
	s_branch .LBB40_2
.LBB40_20:
	s_endpgm
	.section	.rodata,"a",@progbits
	.p2align	6, 0x0
	.amdhsa_kernel naive_conv_ab_packed_wrw_nchw_ushort_double_ushort
		.amdhsa_group_segment_fixed_size 0
		.amdhsa_private_segment_fixed_size 0
		.amdhsa_kernarg_size 480
		.amdhsa_user_sgpr_count 2
		.amdhsa_user_sgpr_dispatch_ptr 0
		.amdhsa_user_sgpr_queue_ptr 0
		.amdhsa_user_sgpr_kernarg_segment_ptr 1
		.amdhsa_user_sgpr_dispatch_id 0
		.amdhsa_user_sgpr_kernarg_preload_length 0
		.amdhsa_user_sgpr_kernarg_preload_offset 0
		.amdhsa_user_sgpr_private_segment_size 0
		.amdhsa_wavefront_size32 1
		.amdhsa_uses_dynamic_stack 0
		.amdhsa_enable_private_segment 0
		.amdhsa_system_sgpr_workgroup_id_x 1
		.amdhsa_system_sgpr_workgroup_id_y 0
		.amdhsa_system_sgpr_workgroup_id_z 0
		.amdhsa_system_sgpr_workgroup_info 0
		.amdhsa_system_vgpr_workitem_id 0
		.amdhsa_next_free_vgpr 20
		.amdhsa_next_free_sgpr 63
		.amdhsa_named_barrier_count 0
		.amdhsa_reserve_vcc 1
		.amdhsa_float_round_mode_32 0
		.amdhsa_float_round_mode_16_64 0
		.amdhsa_float_denorm_mode_32 3
		.amdhsa_float_denorm_mode_16_64 3
		.amdhsa_fp16_overflow 0
		.amdhsa_memory_ordered 1
		.amdhsa_forward_progress 1
		.amdhsa_inst_pref_size 13
		.amdhsa_round_robin_scheduling 0
		.amdhsa_exception_fp_ieee_invalid_op 0
		.amdhsa_exception_fp_denorm_src 0
		.amdhsa_exception_fp_ieee_div_zero 0
		.amdhsa_exception_fp_ieee_overflow 0
		.amdhsa_exception_fp_ieee_underflow 0
		.amdhsa_exception_fp_ieee_inexact 0
		.amdhsa_exception_int_div_zero 0
	.end_amdhsa_kernel
	.text
.Lfunc_end40:
	.size	naive_conv_ab_packed_wrw_nchw_ushort_double_ushort, .Lfunc_end40-naive_conv_ab_packed_wrw_nchw_ushort_double_ushort
                                        ; -- End function
	.set naive_conv_ab_packed_wrw_nchw_ushort_double_ushort.num_vgpr, 20
	.set naive_conv_ab_packed_wrw_nchw_ushort_double_ushort.num_agpr, 0
	.set naive_conv_ab_packed_wrw_nchw_ushort_double_ushort.numbered_sgpr, 63
	.set naive_conv_ab_packed_wrw_nchw_ushort_double_ushort.num_named_barrier, 0
	.set naive_conv_ab_packed_wrw_nchw_ushort_double_ushort.private_seg_size, 0
	.set naive_conv_ab_packed_wrw_nchw_ushort_double_ushort.uses_vcc, 1
	.set naive_conv_ab_packed_wrw_nchw_ushort_double_ushort.uses_flat_scratch, 0
	.set naive_conv_ab_packed_wrw_nchw_ushort_double_ushort.has_dyn_sized_stack, 0
	.set naive_conv_ab_packed_wrw_nchw_ushort_double_ushort.has_recursion, 0
	.set naive_conv_ab_packed_wrw_nchw_ushort_double_ushort.has_indirect_call, 0
	.section	.AMDGPU.csdata,"",@progbits
; Kernel info:
; codeLenInByte = 1612
; TotalNumSgprs: 65
; NumVgprs: 20
; ScratchSize: 0
; MemoryBound: 0
; FloatMode: 240
; IeeeMode: 1
; LDSByteSize: 0 bytes/workgroup (compile time only)
; SGPRBlocks: 0
; VGPRBlocks: 1
; NumSGPRsForWavesPerEU: 65
; NumVGPRsForWavesPerEU: 20
; NamedBarCnt: 0
; Occupancy: 16
; WaveLimiterHint : 0
; COMPUTE_PGM_RSRC2:SCRATCH_EN: 0
; COMPUTE_PGM_RSRC2:USER_SGPR: 2
; COMPUTE_PGM_RSRC2:TRAP_HANDLER: 0
; COMPUTE_PGM_RSRC2:TGID_X_EN: 1
; COMPUTE_PGM_RSRC2:TGID_Y_EN: 0
; COMPUTE_PGM_RSRC2:TGID_Z_EN: 0
; COMPUTE_PGM_RSRC2:TIDIG_COMP_CNT: 0
	.text
	.protected	naive_conv_ab_nonpacked_wrw_nchw_ushort_double_ushort ; -- Begin function naive_conv_ab_nonpacked_wrw_nchw_ushort_double_ushort
	.globl	naive_conv_ab_nonpacked_wrw_nchw_ushort_double_ushort
	.p2align	8
	.type	naive_conv_ab_nonpacked_wrw_nchw_ushort_double_ushort,@function
naive_conv_ab_nonpacked_wrw_nchw_ushort_double_ushort: ; @naive_conv_ab_nonpacked_wrw_nchw_ushort_double_ushort
; %bb.0:
	s_clause 0x1
	s_load_b256 s[20:27], s[0:1], 0xa0
	s_load_b128 s[28:31], s[0:1], 0xd0
	s_bfe_u32 s2, ttmp6, 0x4000c
	s_and_b32 s3, ttmp6, 15
	s_add_co_i32 s2, s2, 1
	s_getreg_b32 s4, hwreg(HW_REG_IB_STS2, 6, 4)
	s_mul_i32 s2, ttmp9, s2
	s_delay_alu instid0(SALU_CYCLE_1)
	s_add_co_i32 s3, s3, s2
	s_cmp_eq_u32 s4, 0
	s_mov_b32 s4, exec_lo
	s_wait_kmcnt 0x0
	s_cselect_b32 s31, ttmp9, s3
	s_mov_b32 s3, 0
	s_abs_i32 s33, s23
	s_mul_i32 s56, s30, s29
	s_cvt_f32_u32 s2, s33
	s_mul_i32 s24, s56, s24
	s_delay_alu instid0(SALU_CYCLE_2) | instskip(SKIP_1) | instid1(TRANS32_DEP_1)
	v_rcp_iflag_f32_e32 v1, s2
	v_nop
	v_readfirstlane_b32 s2, v1
	v_cmpx_gt_i32_e64 s24, v0
	s_cbranch_execz .LBB41_20
; %bb.1:
	s_mul_f32 s2, s2, 0x4f7ffffe
	s_sub_co_i32 s4, 0, s33
	s_mov_b32 s35, s3
	s_ashr_i32 s57, s31, 31
	s_cvt_u32_f32 s34, s2
	s_abs_i32 s2, s31
	s_ashr_i32 s58, s23, 31
	s_load_b128 s[52:55], s[0:1], 0x88
	s_mul_i32 s4, s4, s34
	s_xor_b32 s57, s57, s58
	s_mul_hi_u32 s44, s34, s4
	s_load_b512 s[4:19], s[0:1], 0x28
	s_add_co_i32 s34, s34, s44
	s_load_b256 s[44:51], s[0:1], 0x68
	s_mul_u64 s[34:35], s[2:3], s[34:35]
	s_load_b256 s[36:43], s[0:1], 0x0
	s_mul_i32 s34, s35, s33
	s_load_b64 s[60:61], s[0:1], 0x20
	s_sub_co_i32 s2, s2, s34
	s_add_co_i32 s34, s35, 1
	s_sub_co_i32 s58, s2, s33
	s_cmp_ge_u32 s2, s33
	s_clause 0x1
	s_load_b32 s64, s[0:1], 0xec
	s_load_b64 s[68:69], s[0:1], 0x98
	s_cselect_b32 s34, s34, s35
	s_cselect_b32 s2, s58, s2
	s_add_co_i32 s35, s34, 1
	s_cmp_ge_u32 s2, s33
	v_mov_b32_e32 v3, 0
	s_cselect_b32 s2, s35, s34
	s_delay_alu instid0(SALU_CYCLE_1) | instskip(NEXT) | instid1(SALU_CYCLE_1)
	s_xor_b32 s2, s2, s57
	s_sub_co_i32 s34, s2, s57
	s_delay_alu instid0(SALU_CYCLE_1)
	s_mul_i32 s23, s34, s23
	s_ashr_i32 s35, s34, 31
	s_sub_co_i32 s58, s31, s23
	s_wait_kmcnt 0x0
	s_mul_u64 s[46:47], s[46:47], s[34:35]
	s_ashr_i32 s59, s58, 31
	s_mul_u64 s[10:11], s[10:11], s[34:35]
	s_mul_u64 s[34:35], s[54:55], s[34:35]
	s_lshl_b64 s[54:55], s[46:47], 1
	s_mul_u64 s[44:45], s[44:45], s[58:59]
	s_mul_u64 s[46:47], s[52:53], s[58:59]
	v_cmp_neq_f64_e64 s2, s[40:41], 1.0
	v_cmp_neq_f64_e64 s57, s[42:43], 0
	s_lshl_b64 s[10:11], s[10:11], 1
	s_lshl_b64 s[34:35], s[34:35], 1
	;; [unrolled: 1-line block ×4, first 2 shown]
	s_cmp_lt_i32 s22, 1
	s_add_nc_u64 s[10:11], s[36:37], s[10:11]
	s_cselect_b32 s23, -1, 0
	s_cmp_gt_i32 s25, 0
	s_add_nc_u64 s[36:37], s[38:39], s[54:55]
	s_cselect_b32 s31, -1, 0
	s_cmp_gt_i32 s26, 0
	s_add_nc_u64 s[38:39], s[60:61], s[34:35]
	s_cselect_b32 s33, -1, 0
	s_abs_i32 s62, s30
	s_abs_i32 s63, s56
	s_cvt_f32_u32 s44, s62
	s_add_nc_u64 s[34:35], s[36:37], s[52:53]
	s_add_nc_u64 s[36:37], s[38:39], s[58:59]
	s_sub_co_i32 s38, 0, s62
	v_rcp_iflag_f32_e32 v1, s44
	s_load_b128 s[44:47], s[0:1], 0xc0
	s_wait_xcnt 0x0
	s_abs_i32 s1, s29
	s_sub_co_i32 s53, 0, s63
	s_cvt_f32_u32 s0, s1
	s_and_b32 s64, s64, 0xffff
	s_ashr_i32 s66, s30, 31
	v_nop
	v_readfirstlane_b32 s29, v1
	v_rcp_iflag_f32_e32 v1, s0
	s_cvt_f32_u32 s0, s63
	s_mov_b32 s39, s3
	s_ashr_i32 s67, s56, 31
	s_mul_f32 s29, s29, 0x4f7ffffe
	v_rcp_iflag_f32_e32 v2, s0
	s_or_b32 s65, s2, s57
	v_nop
	v_readfirstlane_b32 s0, v1
	s_cvt_u32_f32 s29, s29
	s_mov_b32 s55, s3
	s_lshl_b64 s[56:57], s[68:69], 1
	s_lshl_b64 s[50:51], s[50:51], 1
	v_readfirstlane_b32 s2, v2
	s_mul_f32 s0, s0, 0x4f7ffffe
	s_mul_i32 s38, s38, s29
	s_lshl_b64 s[48:49], s[48:49], 1
	s_mul_hi_u32 s38, s29, s38
	s_cvt_u32_f32 s0, s0
	s_mul_f32 s2, s2, 0x4f7ffffe
	s_add_co_i32 s38, s29, s38
	s_sub_co_i32 s29, 0, s1
	s_sub_co_i32 s68, 0, s28
	s_mul_i32 s29, s29, s0
	s_cvt_u32_f32 s2, s2
	s_mul_hi_u32 s29, s0, s29
	s_mov_b32 s69, 0
	s_add_co_i32 s52, s0, s29
	s_mul_i32 s0, s53, s2
	s_mov_b32 s53, s3
	s_mul_hi_u32 s0, s2, s0
	s_delay_alu instid0(SALU_CYCLE_1)
	s_add_co_i32 s54, s2, s0
	s_branch .LBB41_3
.LBB41_2:                               ;   in Loop: Header=BB41_3 Depth=1
	v_add_nc_u32_e32 v0, s64, v0
	s_delay_alu instid0(VALU_DEP_1)
	v_cmp_le_i32_e32 vcc_lo, s24, v0
	s_or_b32 s69, vcc_lo, s69
	s_wait_xcnt 0x0
	s_and_not1_b32 exec_lo, exec_lo, s69
	s_cbranch_execz .LBB41_20
.LBB41_3:                               ; =>This Loop Header: Depth=1
                                        ;     Child Loop BB41_8 Depth 2
                                        ;       Child Loop BB41_11 Depth 3
                                        ;         Child Loop BB41_14 Depth 4
	v_sub_nc_u32_e32 v1, 0, v0
	s_mov_b32 s2, -1
	v_dual_mov_b32 v7, v3 :: v_dual_ashrrev_i32 v10, 31, v0
	s_delay_alu instid0(VALU_DEP_2) | instskip(NEXT) | instid1(VALU_DEP_1)
	v_max_i32_e32 v2, v0, v1
	v_mul_u64_e32 v[4:5], s[38:39], v[2:3]
	s_delay_alu instid0(VALU_DEP_1) | instskip(SKIP_1) | instid1(VALU_DEP_2)
	v_mul_lo_u32 v1, v5, s62
	v_add_nc_u32_e32 v4, 1, v5
	v_sub_nc_u32_e32 v1, v2, v1
	s_delay_alu instid0(VALU_DEP_1) | instskip(SKIP_1) | instid1(VALU_DEP_4)
	v_subrev_nc_u32_e32 v6, s62, v1
	v_cmp_le_u32_e32 vcc_lo, s62, v1
	v_cndmask_b32_e32 v4, v5, v4, vcc_lo
	s_delay_alu instid0(VALU_DEP_1) | instskip(NEXT) | instid1(VALU_DEP_1)
	v_dual_cndmask_b32 v1, v1, v6, vcc_lo :: v_dual_add_nc_u32 v5, 1, v4
	v_cmp_le_u32_e32 vcc_lo, s62, v1
	s_delay_alu instid0(VALU_DEP_2) | instskip(SKIP_1) | instid1(VALU_DEP_2)
	v_dual_cndmask_b32 v1, v4, v5, vcc_lo :: v_dual_bitop2_b32 v6, s66, v10 bitop3:0x14
	v_mul_u64_e32 v[4:5], s[54:55], v[2:3]
	v_xor_b32_e32 v1, v1, v6
	s_delay_alu instid0(VALU_DEP_1) | instskip(NEXT) | instid1(VALU_DEP_1)
	v_sub_nc_u32_e32 v1, v1, v6
	v_sub_nc_u32_e32 v4, 0, v1
	s_delay_alu instid0(VALU_DEP_1) | instskip(SKIP_1) | instid1(VALU_DEP_1)
	v_max_i32_e32 v6, v1, v4
	v_mul_lo_u32 v4, v5, s63
	v_dual_sub_nc_u32 v2, v2, v4 :: v_dual_add_nc_u32 v4, 1, v5
	s_delay_alu instid0(VALU_DEP_3) | instskip(NEXT) | instid1(VALU_DEP_2)
	v_mul_u64_e32 v[8:9], s[52:53], v[6:7]
	v_subrev_nc_u32_e32 v8, s63, v2
	v_cmp_le_u32_e32 vcc_lo, s63, v2
	s_delay_alu instid0(VALU_DEP_4) | instskip(NEXT) | instid1(VALU_DEP_3)
	v_cndmask_b32_e32 v4, v5, v4, vcc_lo
	v_dual_cndmask_b32 v2, v2, v8, vcc_lo :: v_dual_bitop2_b32 v8, s67, v10 bitop3:0x14
	s_delay_alu instid0(VALU_DEP_1) | instskip(SKIP_1) | instid1(VALU_DEP_1)
	v_cmp_le_u32_e32 vcc_lo, s63, v2
	v_mul_lo_u32 v7, v9, s1
	v_dual_add_nc_u32 v5, 1, v4 :: v_dual_sub_nc_u32 v6, v6, v7
	s_delay_alu instid0(VALU_DEP_1) | instskip(NEXT) | instid1(VALU_DEP_2)
	v_cndmask_b32_e32 v2, v4, v5, vcc_lo
	v_subrev_nc_u32_e32 v4, s1, v6
	s_delay_alu instid0(VALU_DEP_2) | instskip(SKIP_1) | instid1(VALU_DEP_3)
	v_xor_b32_e32 v5, v2, v8
	v_cmp_le_u32_e32 vcc_lo, s1, v6
	v_cndmask_b32_e32 v2, v6, v4, vcc_lo
	s_delay_alu instid0(VALU_DEP_3) | instskip(SKIP_1) | instid1(VALU_DEP_2)
	v_sub_nc_u32_e32 v6, v5, v8
	s_and_not1_b32 vcc_lo, exec_lo, s23
	v_cmp_le_u32_e64 s0, s1, v2
	s_delay_alu instid0(VALU_DEP_2)
	v_ashrrev_i32_e32 v7, 31, v6
	s_cbranch_vccnz .LBB41_5
; %bb.4:                                ;   in Loop: Header=BB41_3 Depth=1
	s_mov_b32 s2, 0
.LBB41_5:                               ;   in Loop: Header=BB41_3 Depth=1
	v_subrev_nc_u32_e32 v4, s1, v2
	v_mul_lo_u32 v8, v1, s30
	v_ashrrev_i32_e32 v1, 31, v1
	s_and_not1_b32 vcc_lo, exec_lo, s2
	s_delay_alu instid0(VALU_DEP_3) | instskip(SKIP_1) | instid1(VALU_DEP_2)
	v_cndmask_b32_e64 v2, v2, v4, s0
	v_mov_b64_e32 v[4:5], 0
	v_dual_sub_nc_u32 v8, v0, v8 :: v_dual_bitop2_b32 v2, v2, v1 bitop3:0x14
	s_delay_alu instid0(VALU_DEP_1)
	v_sub_nc_u32_e32 v1, v2, v1
	s_cbranch_vccnz .LBB41_16
; %bb.6:                                ;   in Loop: Header=BB41_3 Depth=1
	v_mul_u64_e32 v[10:11], s[8:9], v[6:7]
	s_wait_kmcnt 0x0
	s_delay_alu instid0(VALU_DEP_2) | instskip(SKIP_4) | instid1(VALU_DEP_4)
	v_mul_lo_u32 v9, v1, s45
	v_mad_u32 v16, v8, s46, s68
	v_mov_b64_e32 v[4:5], 0
	s_mov_b32 s2, 0
	s_mov_b64 s[28:29], s[36:37]
	v_lshl_add_u64 v[10:11], v[10:11], 1, s[10:11]
	s_branch .LBB41_8
.LBB41_7:                               ;   in Loop: Header=BB41_8 Depth=2
	s_add_co_i32 s2, s2, 1
	s_add_nc_u64 s[28:29], s[28:29], s[56:57]
	s_cmp_eq_u32 s2, s22
	s_cbranch_scc1 .LBB41_16
.LBB41_8:                               ;   Parent Loop BB41_3 Depth=1
                                        ; =>  This Loop Header: Depth=2
                                        ;       Child Loop BB41_11 Depth 3
                                        ;         Child Loop BB41_14 Depth 4
	s_and_not1_b32 vcc_lo, exec_lo, s31
	s_cbranch_vccnz .LBB41_7
; %bb.9:                                ;   in Loop: Header=BB41_8 Depth=2
	s_mul_u64 s[58:59], s[12:13], s[2:3]
	s_mov_b32 s70, 0
	v_lshl_add_u64 v[12:13], s[58:59], 1, v[10:11]
	s_mov_b64 s[58:59], s[28:29]
	s_branch .LBB41_11
.LBB41_10:                              ;   in Loop: Header=BB41_11 Depth=3
	s_add_co_i32 s70, s70, 1
	s_add_nc_u64 s[58:59], s[58:59], s[50:51]
	s_cmp_eq_u32 s70, s25
	s_cbranch_scc1 .LBB41_7
.LBB41_11:                              ;   Parent Loop BB41_3 Depth=1
                                        ;     Parent Loop BB41_8 Depth=2
                                        ; =>    This Loop Header: Depth=3
                                        ;         Child Loop BB41_14 Depth 4
	s_and_not1_b32 vcc_lo, exec_lo, s33
	s_cbranch_vccnz .LBB41_10
; %bb.12:                               ;   in Loop: Header=BB41_11 Depth=3
	s_mul_i32 s0, s70, s27
	s_mov_b64 s[60:61], s[58:59]
	s_sub_co_i32 s0, s0, s47
	s_mov_b32 s72, s26
	v_add_nc_u32_e32 v2, s0, v9
	s_delay_alu instid0(VALU_DEP_1)
	v_mul_u64_e32 v[14:15], s[6:7], v[2:3]
	v_cmp_gt_i32_e32 vcc_lo, 0, v2
	v_cmp_le_i32_e64 s0, s20, v2
	v_mov_b32_e32 v2, v16
	s_or_b32 s71, vcc_lo, s0
	v_lshl_add_u64 v[14:15], v[14:15], 1, v[12:13]
	s_branch .LBB41_14
.LBB41_13:                              ;   in Loop: Header=BB41_14 Depth=4
	s_or_b32 exec_lo, exec_lo, s0
	v_add_nc_u32_e32 v2, s44, v2
	s_add_co_i32 s72, s72, -1
	s_add_nc_u64 s[60:61], s[60:61], s[48:49]
	s_cmp_eq_u32 s72, 0
	s_cbranch_scc1 .LBB41_10
.LBB41_14:                              ;   Parent Loop BB41_3 Depth=1
                                        ;     Parent Loop BB41_8 Depth=2
                                        ;       Parent Loop BB41_11 Depth=3
                                        ; =>      This Inner Loop Header: Depth=4
	s_delay_alu instid0(VALU_DEP_2) | instskip(SKIP_2) | instid1(SALU_CYCLE_1)
	v_cmp_gt_i32_e32 vcc_lo, 0, v2
	v_cmp_le_i32_e64 s0, s21, v2
	s_or_b32 s0, vcc_lo, s0
	s_nor_b32 s73, s71, s0
	s_delay_alu instid0(SALU_CYCLE_1)
	s_and_saveexec_b32 s0, s73
	s_cbranch_execz .LBB41_13
; %bb.15:                               ;   in Loop: Header=BB41_14 Depth=4
	v_mul_u64_e32 v[18:19], s[4:5], v[2:3]
	s_load_u16 s73, s[60:61], 0x0
	s_wait_kmcnt 0x0
	s_lshl_b32 s73, s73, 16
	s_delay_alu instid0(VALU_DEP_1)
	v_lshl_add_u64 v[18:19], v[18:19], 1, v[14:15]
	global_load_u16 v17, v[18:19], off
	s_wait_xcnt 0x0
	v_cvt_f64_f32_e32 v[18:19], s73
	s_wait_loadcnt 0x0
	v_lshlrev_b32_e32 v17, 16, v17
	s_delay_alu instid0(VALU_DEP_1) | instskip(NEXT) | instid1(VALU_DEP_1)
	v_cvt_f64_f32_e32 v[20:21], v17
	v_fmac_f64_e32 v[4:5], v[20:21], v[18:19]
	s_branch .LBB41_13
.LBB41_16:                              ;   in Loop: Header=BB41_3 Depth=1
	s_delay_alu instid0(VALU_DEP_2) | instskip(SKIP_2) | instid1(VALU_DEP_1)
	v_ashrrev_i32_e32 v9, 31, v8
	s_and_b32 vcc_lo, exec_lo, s65
	s_mov_b32 s0, -1
	v_mul_u64_e32 v[8:9], s[14:15], v[8:9]
	s_delay_alu instid0(VALU_DEP_1) | instskip(NEXT) | instid1(VALU_DEP_1)
	v_mad_nc_u64_u32 v[8:9], s16, v1, v[8:9]
	v_mad_u32 v2, s17, v1, v9
	v_ashrrev_i32_e32 v1, 31, v1
	s_delay_alu instid0(VALU_DEP_1) | instskip(NEXT) | instid1(VALU_DEP_1)
	v_mad_u32 v9, s16, v1, v2
	v_mad_nc_u64_u32 v[8:9], v6, s18, v[8:9]
	s_delay_alu instid0(VALU_DEP_1) | instskip(NEXT) | instid1(VALU_DEP_1)
	v_mad_u32 v1, v7, s18, v9
	v_mad_u32 v9, v6, s19, v1
	s_delay_alu instid0(VALU_DEP_1)
	v_lshl_add_u64 v[6:7], v[8:9], 1, s[34:35]
	s_cbranch_vccz .LBB41_18
; %bb.17:                               ;   in Loop: Header=BB41_3 Depth=1
	global_load_u16 v1, v[6:7], off
	s_wait_loadcnt 0x0
	v_lshlrev_b32_e32 v1, 16, v1
	s_delay_alu instid0(VALU_DEP_1) | instskip(NEXT) | instid1(VALU_DEP_1)
	v_cvt_f64_f32_e32 v[8:9], v1
	v_mul_f64_e32 v[8:9], s[42:43], v[8:9]
	s_delay_alu instid0(VALU_DEP_1) | instskip(NEXT) | instid1(VALU_DEP_1)
	v_fmac_f64_e32 v[8:9], s[40:41], v[4:5]
	v_cvt_f32_f64_e32 v1, v[8:9]
	s_delay_alu instid0(VALU_DEP_1) | instskip(SKIP_2) | instid1(VALU_DEP_3)
	v_and_b32_e32 v2, 0x7f800000, v1
	v_and_b32_e32 v8, 0xffff, v1
	v_lshrrev_b32_e32 v1, 16, v1
	v_cmp_eq_u32_e32 vcc_lo, 0x7f800000, v2
	s_delay_alu instid0(VALU_DEP_3) | instskip(SKIP_1) | instid1(SALU_CYCLE_1)
	v_cmp_ne_u32_e64 s0, 0, v8
	s_and_b32 s0, vcc_lo, s0
	v_cndmask_b32_e64 v2, 0, 1, s0
	s_mov_b32 s0, 0
	s_delay_alu instid0(VALU_DEP_1)
	v_or_b32_e32 v1, v1, v2
	global_store_b16 v[6:7], v1, off
.LBB41_18:                              ;   in Loop: Header=BB41_3 Depth=1
	s_and_not1_b32 vcc_lo, exec_lo, s0
	s_cbranch_vccnz .LBB41_2
; %bb.19:                               ;   in Loop: Header=BB41_3 Depth=1
	s_wait_xcnt 0x0
	v_cvt_f32_f64_e32 v1, v[4:5]
	s_delay_alu instid0(VALU_DEP_1) | instskip(SKIP_2) | instid1(VALU_DEP_3)
	v_and_b32_e32 v2, 0x7f800000, v1
	v_and_b32_e32 v4, 0xffff, v1
	v_lshrrev_b32_e32 v1, 16, v1
	v_cmp_eq_u32_e32 vcc_lo, 0x7f800000, v2
	s_delay_alu instid0(VALU_DEP_3) | instskip(SKIP_1) | instid1(SALU_CYCLE_1)
	v_cmp_ne_u32_e64 s0, 0, v4
	s_and_b32 s0, vcc_lo, s0
	v_cndmask_b32_e64 v2, 0, 1, s0
	s_delay_alu instid0(VALU_DEP_1)
	v_or_b32_e32 v1, v1, v2
	global_store_b16 v[6:7], v1, off
	s_branch .LBB41_2
.LBB41_20:
	s_endpgm
	.section	.rodata,"a",@progbits
	.p2align	6, 0x0
	.amdhsa_kernel naive_conv_ab_nonpacked_wrw_nchw_ushort_double_ushort
		.amdhsa_group_segment_fixed_size 0
		.amdhsa_private_segment_fixed_size 0
		.amdhsa_kernarg_size 480
		.amdhsa_user_sgpr_count 2
		.amdhsa_user_sgpr_dispatch_ptr 0
		.amdhsa_user_sgpr_queue_ptr 0
		.amdhsa_user_sgpr_kernarg_segment_ptr 1
		.amdhsa_user_sgpr_dispatch_id 0
		.amdhsa_user_sgpr_kernarg_preload_length 0
		.amdhsa_user_sgpr_kernarg_preload_offset 0
		.amdhsa_user_sgpr_private_segment_size 0
		.amdhsa_wavefront_size32 1
		.amdhsa_uses_dynamic_stack 0
		.amdhsa_enable_private_segment 0
		.amdhsa_system_sgpr_workgroup_id_x 1
		.amdhsa_system_sgpr_workgroup_id_y 0
		.amdhsa_system_sgpr_workgroup_id_z 0
		.amdhsa_system_sgpr_workgroup_info 0
		.amdhsa_system_vgpr_workitem_id 0
		.amdhsa_next_free_vgpr 22
		.amdhsa_next_free_sgpr 74
		.amdhsa_named_barrier_count 0
		.amdhsa_reserve_vcc 1
		.amdhsa_float_round_mode_32 0
		.amdhsa_float_round_mode_16_64 0
		.amdhsa_float_denorm_mode_32 3
		.amdhsa_float_denorm_mode_16_64 3
		.amdhsa_fp16_overflow 0
		.amdhsa_memory_ordered 1
		.amdhsa_forward_progress 1
		.amdhsa_inst_pref_size 13
		.amdhsa_round_robin_scheduling 0
		.amdhsa_exception_fp_ieee_invalid_op 0
		.amdhsa_exception_fp_denorm_src 0
		.amdhsa_exception_fp_ieee_div_zero 0
		.amdhsa_exception_fp_ieee_overflow 0
		.amdhsa_exception_fp_ieee_underflow 0
		.amdhsa_exception_fp_ieee_inexact 0
		.amdhsa_exception_int_div_zero 0
	.end_amdhsa_kernel
	.text
.Lfunc_end41:
	.size	naive_conv_ab_nonpacked_wrw_nchw_ushort_double_ushort, .Lfunc_end41-naive_conv_ab_nonpacked_wrw_nchw_ushort_double_ushort
                                        ; -- End function
	.set naive_conv_ab_nonpacked_wrw_nchw_ushort_double_ushort.num_vgpr, 22
	.set naive_conv_ab_nonpacked_wrw_nchw_ushort_double_ushort.num_agpr, 0
	.set naive_conv_ab_nonpacked_wrw_nchw_ushort_double_ushort.numbered_sgpr, 74
	.set naive_conv_ab_nonpacked_wrw_nchw_ushort_double_ushort.num_named_barrier, 0
	.set naive_conv_ab_nonpacked_wrw_nchw_ushort_double_ushort.private_seg_size, 0
	.set naive_conv_ab_nonpacked_wrw_nchw_ushort_double_ushort.uses_vcc, 1
	.set naive_conv_ab_nonpacked_wrw_nchw_ushort_double_ushort.uses_flat_scratch, 0
	.set naive_conv_ab_nonpacked_wrw_nchw_ushort_double_ushort.has_dyn_sized_stack, 0
	.set naive_conv_ab_nonpacked_wrw_nchw_ushort_double_ushort.has_recursion, 0
	.set naive_conv_ab_nonpacked_wrw_nchw_ushort_double_ushort.has_indirect_call, 0
	.section	.AMDGPU.csdata,"",@progbits
; Kernel info:
; codeLenInByte = 1628
; TotalNumSgprs: 76
; NumVgprs: 22
; ScratchSize: 0
; MemoryBound: 0
; FloatMode: 240
; IeeeMode: 1
; LDSByteSize: 0 bytes/workgroup (compile time only)
; SGPRBlocks: 0
; VGPRBlocks: 1
; NumSGPRsForWavesPerEU: 76
; NumVGPRsForWavesPerEU: 22
; NamedBarCnt: 0
; Occupancy: 16
; WaveLimiterHint : 0
; COMPUTE_PGM_RSRC2:SCRATCH_EN: 0
; COMPUTE_PGM_RSRC2:USER_SGPR: 2
; COMPUTE_PGM_RSRC2:TRAP_HANDLER: 0
; COMPUTE_PGM_RSRC2:TGID_X_EN: 1
; COMPUTE_PGM_RSRC2:TGID_Y_EN: 0
; COMPUTE_PGM_RSRC2:TGID_Z_EN: 0
; COMPUTE_PGM_RSRC2:TIDIG_COMP_CNT: 0
	.text
	.protected	naive_conv_ab_packed_wrw_nhwc_float_double_float ; -- Begin function naive_conv_ab_packed_wrw_nhwc_float_double_float
	.globl	naive_conv_ab_packed_wrw_nhwc_float_double_float
	.p2align	8
	.type	naive_conv_ab_packed_wrw_nhwc_float_double_float,@function
naive_conv_ab_packed_wrw_nhwc_float_double_float: ; @naive_conv_ab_packed_wrw_nhwc_float_double_float
; %bb.0:
	s_load_b512 s[4:19], s[0:1], 0xa0
	s_bfe_u32 s2, ttmp6, 0x4000c
	s_and_b32 s3, ttmp6, 15
	s_add_co_i32 s2, s2, 1
	s_getreg_b32 s20, hwreg(HW_REG_IB_STS2, 6, 4)
	s_mul_i32 s2, ttmp9, s2
	s_delay_alu instid0(SALU_CYCLE_1)
	s_add_co_i32 s3, s3, s2
	s_cmp_eq_u32 s20, 0
	s_mov_b32 s20, exec_lo
	s_cselect_b32 s36, ttmp9, s3
	s_mov_b32 s3, 0
	s_wait_kmcnt 0x0
	s_abs_i32 s29, s7
	s_mul_i32 s44, s18, s8
	s_cvt_f32_u32 s2, s29
	s_mul_i32 s33, s44, s17
	s_delay_alu instid0(SALU_CYCLE_2) | instskip(SKIP_1) | instid1(TRANS32_DEP_1)
	v_rcp_iflag_f32_e32 v1, s2
	v_nop
	v_readfirstlane_b32 s2, v1
	v_cmpx_gt_i32_e64 s33, v0
	s_cbranch_execz .LBB42_18
; %bb.1:
	s_mul_f32 s2, s2, 0x4f7ffffe
	s_mov_b32 s31, s3
	s_ashr_i32 s37, s36, 31
	s_ashr_i32 s39, s7, 31
	s_cvt_u32_f32 s28, s2
	s_sub_co_i32 s2, 0, s29
	s_xor_b32 s37, s37, s39
	s_clause 0x1
	s_load_b256 s[20:27], s[0:1], 0x0
	s_load_b64 s[34:35], s[0:1], 0x20
	s_mul_i32 s30, s2, s28
	s_abs_i32 s2, s36
	s_mul_hi_u32 s30, s28, s30
	s_mov_b32 s38, s7
	s_add_co_i32 s30, s28, s30
	s_mov_b32 s28, s8
	s_mul_u64 s[30:31], s[2:3], s[30:31]
	s_mov_b32 s40, s17
	s_mul_i32 s30, s31, s29
	s_mov_b32 s48, s10
	s_sub_co_i32 s2, s2, s30
	s_add_co_i32 s30, s31, 1
	s_sub_co_i32 s41, s2, s29
	s_cmp_ge_u32 s2, s29
	v_mov_b32_e32 v3, 0
	s_cselect_b32 s31, s30, s31
	s_cselect_b32 s2, s41, s2
	s_add_co_i32 s41, s31, 1
	s_cmp_ge_u32 s2, s29
	s_mov_b32 s30, s18
	s_cselect_b32 s2, s41, s31
	s_ashr_i32 s29, s8, 31
	s_xor_b32 s2, s2, s37
	s_ashr_i32 s41, s17, 31
	s_sub_co_i32 s42, s2, s37
	s_ashr_i32 s31, s18, 31
	s_mul_i32 s2, s42, s7
	s_ashr_i32 s43, s42, 31
	s_sub_co_i32 s36, s36, s2
	s_mul_u64 s[38:39], s[42:43], s[38:39]
	s_mul_u64 s[42:43], s[42:43], s[28:29]
	;; [unrolled: 1-line block ×3, first 2 shown]
	s_ashr_i32 s37, s36, 31
	s_lshl_b64 s[42:43], s[42:43], 2
	s_mul_u64 s[40:41], s[40:41], s[30:31]
	s_add_nc_u64 s[46:47], s[38:39], s[36:37]
	s_wait_kmcnt 0x0
	s_add_nc_u64 s[20:21], s[20:21], s[42:43]
	v_cmp_neq_f64_e64 s17, s[24:25], 1.0
	v_cmp_neq_f64_e64 s42, s[26:27], 0
	s_mul_u64 s[40:41], s[40:41], s[46:47]
	s_lshl_b64 s[38:39], s[38:39], 2
	s_lshl_b64 s[40:41], s[40:41], 2
	s_load_b32 s2, s[0:1], 0xec
	s_wait_xcnt 0x0
	s_add_nc_u64 s[0:1], s[34:35], s[38:39]
	s_lshl_b64 s[34:35], s[36:37], 2
	s_cmp_lt_i32 s6, 1
	s_add_nc_u64 s[34:35], s[0:1], s[34:35]
	s_cselect_b32 s31, -1, 0
	s_cmp_gt_i32 s9, 0
	s_mul_i32 s36, s19, s8
	s_cselect_b32 s58, -1, 0
	s_cmp_gt_i32 s10, 0
	s_mul_i32 s0, s19, s7
	s_cselect_b32 s7, -1, 0
	s_abs_i32 s8, s8
	s_abs_i32 s59, s18
	s_cvt_f32_u32 s1, s8
	s_abs_i32 s60, s44
	s_ashr_i32 s49, s10, 31
	s_cvt_f32_u32 s19, s60
	v_rcp_iflag_f32_e32 v1, s1
	s_cvt_f32_u32 s1, s59
	s_wait_kmcnt 0x0
	s_and_b32 s62, s2, 0xffff
	s_sub_co_i32 s2, 0, s8
	s_ashr_i32 s47, s9, 31
	v_rcp_iflag_f32_e32 v2, s1
	s_ashr_i32 s1, s0, 31
	v_readfirstlane_b32 s18, v1
	v_rcp_iflag_f32_e32 v1, s19
	s_mov_b32 s46, s9
	s_or_b32 s61, s17, s42
	s_mul_u64 s[48:49], s[48:49], s[0:1]
	s_mul_f32 s18, s18, 0x4f7ffffe
	v_readfirstlane_b32 s43, v2
	s_mul_u64 s[46:47], s[48:49], s[46:47]
	v_readfirstlane_b32 s19, v1
	s_cvt_u32_f32 s17, s18
	s_add_nc_u64 s[22:23], s[22:23], s[40:41]
	s_mul_f32 s18, s43, 0x4f7ffffe
	s_ashr_i32 s39, s4, 31
	s_mul_i32 s2, s2, s17
	s_mov_b32 s38, s4
	s_mul_hi_u32 s2, s17, s2
	s_cvt_u32_f32 s42, s18
	s_add_co_i32 s18, s17, s2
	s_sub_co_i32 s2, 0, s59
	s_mul_f32 s17, s19, 0x4f7ffffe
	s_mul_i32 s2, s2, s42
	s_ashr_i32 s41, s5, 31
	s_mul_hi_u32 s2, s42, s2
	s_cvt_u32_f32 s17, s17
	s_add_co_i32 s42, s42, s2
	s_sub_co_i32 s2, 0, s60
	s_mov_b32 s40, s5
	s_mul_i32 s2, s2, s17
	s_ashr_i32 s37, s36, 31
	s_mul_hi_u32 s2, s17, s2
	s_mov_b32 s19, s3
	s_mov_b32 s43, s3
	s_ashr_i32 s63, s44, 31
	s_add_co_i32 s44, s17, s2
	s_mov_b32 s45, s3
	s_lshl_b64 s[46:47], s[46:47], 2
	s_lshl_b64 s[48:49], s[48:49], 2
	;; [unrolled: 1-line block ×3, first 2 shown]
	s_sub_co_i32 s64, 0, s16
	s_mov_b32 s65, 0
	s_branch .LBB42_3
.LBB42_2:                               ;   in Loop: Header=BB42_3 Depth=1
	s_delay_alu instid0(VALU_DEP_1) | instskip(SKIP_1) | instid1(VALU_DEP_1)
	v_cvt_f32_f64_e32 v1, v[6:7]
	v_add_nc_u32_e32 v0, s62, v0
	v_cmp_le_i32_e32 vcc_lo, s33, v0
	s_or_b32 s65, vcc_lo, s65
	global_store_b32 v[4:5], v1, off
	s_wait_xcnt 0x0
	s_and_not1_b32 exec_lo, exec_lo, s65
	s_cbranch_execz .LBB42_18
.LBB42_3:                               ; =>This Loop Header: Depth=1
                                        ;     Child Loop BB42_8 Depth 2
                                        ;       Child Loop BB42_11 Depth 3
                                        ;         Child Loop BB42_14 Depth 4
	v_sub_nc_u32_e32 v1, 0, v0
	s_mov_b32 s16, -1
	s_delay_alu instid0(VALU_DEP_1) | instskip(NEXT) | instid1(VALU_DEP_1)
	v_max_i32_e32 v2, v0, v1
	v_mul_u64_e32 v[4:5], s[18:19], v[2:3]
	s_delay_alu instid0(VALU_DEP_1) | instskip(NEXT) | instid1(VALU_DEP_1)
	v_mul_lo_u32 v1, v5, s8
	v_sub_nc_u32_e32 v4, v2, v1
	v_add_nc_u32_e32 v1, 1, v5
	s_delay_alu instid0(VALU_DEP_2) | instskip(NEXT) | instid1(VALU_DEP_2)
	v_cmp_le_u32_e32 vcc_lo, s8, v4
	v_dual_cndmask_b32 v5, v5, v1, vcc_lo :: v_dual_ashrrev_i32 v1, 31, v0
	v_subrev_nc_u32_e32 v6, s8, v4
	s_delay_alu instid0(VALU_DEP_1) | instskip(NEXT) | instid1(VALU_DEP_1)
	v_dual_cndmask_b32 v4, v4, v6, vcc_lo :: v_dual_add_nc_u32 v6, 1, v5
	v_cmp_le_u32_e32 vcc_lo, s8, v4
	s_delay_alu instid0(VALU_DEP_2) | instskip(NEXT) | instid1(VALU_DEP_1)
	v_dual_cndmask_b32 v4, v5, v6, vcc_lo :: v_dual_bitop2_b32 v7, s29, v1 bitop3:0x14
	v_dual_mov_b32 v5, v3 :: v_dual_bitop2_b32 v4, v4, v7 bitop3:0x14
	s_delay_alu instid0(VALU_DEP_1) | instskip(SKIP_1) | instid1(VALU_DEP_2)
	v_sub_nc_u32_e32 v8, v4, v7
	v_mul_u64_e32 v[6:7], s[44:45], v[2:3]
	v_sub_nc_u32_e32 v4, 0, v8
	s_delay_alu instid0(VALU_DEP_1) | instskip(NEXT) | instid1(VALU_DEP_1)
	v_max_i32_e32 v4, v8, v4
	v_mul_u64_e32 v[10:11], s[42:43], v[4:5]
	s_delay_alu instid0(VALU_DEP_4) | instskip(NEXT) | instid1(VALU_DEP_1)
	v_mul_lo_u32 v5, v7, s60
	v_sub_nc_u32_e32 v2, v2, v5
	v_mul_lo_u32 v5, v8, s28
	s_delay_alu instid0(VALU_DEP_4) | instskip(NEXT) | instid1(VALU_DEP_3)
	v_mul_lo_u32 v6, v11, s59
	v_cmp_le_u32_e64 s0, s60, v2
	s_delay_alu instid0(VALU_DEP_2) | instskip(SKIP_1) | instid1(VALU_DEP_2)
	v_sub_nc_u32_e32 v4, v4, v6
	v_subrev_nc_u32_e32 v6, s60, v2
	v_subrev_nc_u32_e32 v9, s59, v4
	v_cmp_le_u32_e32 vcc_lo, s59, v4
	s_delay_alu instid0(VALU_DEP_2) | instskip(SKIP_1) | instid1(VALU_DEP_2)
	v_dual_cndmask_b32 v6, v2, v6, s0 :: v_dual_cndmask_b32 v2, v4, v9, vcc_lo
	v_sub_nc_u32_e32 v4, v0, v5
	v_cmp_le_u32_e64 s1, s60, v6
	s_and_not1_b32 vcc_lo, exec_lo, s31
	v_ashrrev_i32_e32 v5, 31, v4
	v_cmp_le_u32_e64 s2, s59, v2
	s_cbranch_vccnz .LBB42_5
; %bb.4:                                ;   in Loop: Header=BB42_3 Depth=1
	s_mov_b32 s16, 0
.LBB42_5:                               ;   in Loop: Header=BB42_3 Depth=1
	v_dual_add_nc_u32 v6, 1, v7 :: v_dual_ashrrev_i32 v8, 31, v8
	s_and_not1_b32 vcc_lo, exec_lo, s16
	s_delay_alu instid0(VALU_DEP_1) | instskip(SKIP_1) | instid1(VALU_DEP_1)
	v_dual_cndmask_b32 v6, v7, v6, s0 :: v_dual_bitop2_b32 v1, s63, v1 bitop3:0x14
	v_subrev_nc_u32_e32 v7, s59, v2
	v_dual_cndmask_b32 v2, v2, v7, s2 :: v_dual_add_nc_u32 v9, 1, v6
	s_delay_alu instid0(VALU_DEP_1) | instskip(NEXT) | instid1(VALU_DEP_1)
	v_cndmask_b32_e64 v6, v6, v9, s1
	v_xor_b32_e32 v9, v6, v1
	s_delay_alu instid0(VALU_DEP_3) | instskip(SKIP_1) | instid1(VALU_DEP_2)
	v_xor_b32_e32 v2, v2, v8
	v_mov_b64_e32 v[6:7], 0
	v_dual_sub_nc_u32 v1, v9, v1 :: v_dual_sub_nc_u32 v8, v2, v8
	s_cbranch_vccnz .LBB42_16
; %bb.6:                                ;   in Loop: Header=BB42_3 Depth=1
	s_delay_alu instid0(VALU_DEP_1) | instskip(NEXT) | instid1(VALU_DEP_2)
	v_mul_lo_u32 v9, v1, s13
	v_mad_u32 v14, v8, s14, s64
	v_mov_b64_e32 v[6:7], 0
	v_lshl_add_u64 v[10:11], v[4:5], 2, s[20:21]
	s_mov_b32 s2, 0
	s_mov_b64 s[16:17], s[34:35]
	s_branch .LBB42_8
.LBB42_7:                               ;   in Loop: Header=BB42_8 Depth=2
	s_add_co_i32 s2, s2, 1
	s_add_nc_u64 s[16:17], s[16:17], s[46:47]
	s_cmp_eq_u32 s2, s6
	s_cbranch_scc1 .LBB42_16
.LBB42_8:                               ;   Parent Loop BB42_3 Depth=1
                                        ; =>  This Loop Header: Depth=2
                                        ;       Child Loop BB42_11 Depth 3
                                        ;         Child Loop BB42_14 Depth 4
	s_and_not1_b32 vcc_lo, exec_lo, s58
	s_cbranch_vccnz .LBB42_7
; %bb.9:                                ;   in Loop: Header=BB42_8 Depth=2
	s_mul_u64 s[52:53], s[2:3], s[38:39]
	s_mov_b32 s1, 0
	s_mov_b64 s[54:55], s[16:17]
	s_branch .LBB42_11
.LBB42_10:                              ;   in Loop: Header=BB42_11 Depth=3
	s_add_co_i32 s1, s1, 1
	s_add_nc_u64 s[54:55], s[54:55], s[48:49]
	s_cmp_eq_u32 s1, s9
	s_cbranch_scc1 .LBB42_7
.LBB42_11:                              ;   Parent Loop BB42_3 Depth=1
                                        ;     Parent Loop BB42_8 Depth=2
                                        ; =>    This Loop Header: Depth=3
                                        ;         Child Loop BB42_14 Depth 4
	s_and_not1_b32 vcc_lo, exec_lo, s7
	s_cbranch_vccnz .LBB42_10
; %bb.12:                               ;   in Loop: Header=BB42_11 Depth=3
	s_mul_i32 s0, s1, s11
	s_mov_b64 s[56:57], s[54:55]
	s_sub_co_i32 s0, s0, s15
	s_mov_b32 s67, s10
	v_add_nc_u32_e32 v2, s0, v9
	s_delay_alu instid0(VALU_DEP_1)
	v_add_nc_u64_e32 v[12:13], s[52:53], v[2:3]
	v_cmp_gt_i32_e32 vcc_lo, 0, v2
	v_cmp_le_i32_e64 s0, s4, v2
	v_mov_b32_e32 v2, v14
	s_or_b32 s66, vcc_lo, s0
	v_mul_u64_e32 v[12:13], s[40:41], v[12:13]
	s_branch .LBB42_14
.LBB42_13:                              ;   in Loop: Header=BB42_14 Depth=4
	s_or_b32 exec_lo, exec_lo, s0
	v_add_nc_u32_e32 v2, s12, v2
	s_add_co_i32 s67, s67, -1
	s_add_nc_u64 s[56:57], s[56:57], s[50:51]
	s_cmp_eq_u32 s67, 0
	s_cbranch_scc1 .LBB42_10
.LBB42_14:                              ;   Parent Loop BB42_3 Depth=1
                                        ;     Parent Loop BB42_8 Depth=2
                                        ;       Parent Loop BB42_11 Depth=3
                                        ; =>      This Inner Loop Header: Depth=4
	s_delay_alu instid0(VALU_DEP_2) | instskip(SKIP_2) | instid1(SALU_CYCLE_1)
	v_cmp_gt_i32_e32 vcc_lo, 0, v2
	v_cmp_le_i32_e64 s0, s5, v2
	s_or_b32 s0, vcc_lo, s0
	s_nor_b32 s68, s66, s0
	s_delay_alu instid0(SALU_CYCLE_1)
	s_and_saveexec_b32 s0, s68
	s_cbranch_execz .LBB42_13
; %bb.15:                               ;   in Loop: Header=BB42_14 Depth=4
	v_add_nc_u64_e32 v[16:17], v[12:13], v[2:3]
	s_load_b32 s68, s[56:57], 0x0
	s_delay_alu instid0(VALU_DEP_1) | instskip(SKIP_2) | instid1(VALU_DEP_2)
	v_mul_u64_e32 v[16:17], s[36:37], v[16:17]
	s_wait_kmcnt 0x0
	v_cvt_f64_f32_e32 v[18:19], s68
	v_lshl_add_u64 v[16:17], v[16:17], 2, v[10:11]
	global_load_b32 v15, v[16:17], off
	s_wait_loadcnt 0x0
	s_wait_xcnt 0x0
	v_cvt_f64_f32_e32 v[16:17], v15
	s_delay_alu instid0(VALU_DEP_1)
	v_fmac_f64_e32 v[6:7], v[16:17], v[18:19]
	s_branch .LBB42_13
.LBB42_16:                              ;   in Loop: Header=BB42_3 Depth=1
	s_delay_alu instid0(VALU_DEP_1) | instskip(SKIP_1) | instid1(VALU_DEP_1)
	v_ashrrev_i32_e32 v9, 31, v8
	s_and_not1_b32 vcc_lo, exec_lo, s61
	v_mad_nc_i64_i32 v[8:9], v1, s30, v[8:9]
	s_delay_alu instid0(VALU_DEP_1) | instskip(NEXT) | instid1(VALU_DEP_1)
	v_mul_u64_e32 v[8:9], s[28:29], v[8:9]
	v_lshl_add_u64 v[8:9], v[8:9], 2, s[22:23]
	s_delay_alu instid0(VALU_DEP_1)
	v_lshl_add_u64 v[4:5], v[4:5], 2, v[8:9]
	s_cbranch_vccnz .LBB42_2
; %bb.17:                               ;   in Loop: Header=BB42_3 Depth=1
	global_load_b32 v1, v[4:5], off
	s_wait_loadcnt 0x0
	v_cvt_f64_f32_e32 v[8:9], v1
	s_delay_alu instid0(VALU_DEP_1) | instskip(NEXT) | instid1(VALU_DEP_1)
	v_mul_f64_e32 v[8:9], s[26:27], v[8:9]
	v_fmac_f64_e32 v[8:9], s[24:25], v[6:7]
	s_delay_alu instid0(VALU_DEP_1)
	v_mov_b64_e32 v[6:7], v[8:9]
	s_branch .LBB42_2
.LBB42_18:
	s_endpgm
	.section	.rodata,"a",@progbits
	.p2align	6, 0x0
	.amdhsa_kernel naive_conv_ab_packed_wrw_nhwc_float_double_float
		.amdhsa_group_segment_fixed_size 0
		.amdhsa_private_segment_fixed_size 0
		.amdhsa_kernarg_size 480
		.amdhsa_user_sgpr_count 2
		.amdhsa_user_sgpr_dispatch_ptr 0
		.amdhsa_user_sgpr_queue_ptr 0
		.amdhsa_user_sgpr_kernarg_segment_ptr 1
		.amdhsa_user_sgpr_dispatch_id 0
		.amdhsa_user_sgpr_kernarg_preload_length 0
		.amdhsa_user_sgpr_kernarg_preload_offset 0
		.amdhsa_user_sgpr_private_segment_size 0
		.amdhsa_wavefront_size32 1
		.amdhsa_uses_dynamic_stack 0
		.amdhsa_enable_private_segment 0
		.amdhsa_system_sgpr_workgroup_id_x 1
		.amdhsa_system_sgpr_workgroup_id_y 0
		.amdhsa_system_sgpr_workgroup_id_z 0
		.amdhsa_system_sgpr_workgroup_info 0
		.amdhsa_system_vgpr_workitem_id 0
		.amdhsa_next_free_vgpr 20
		.amdhsa_next_free_sgpr 69
		.amdhsa_named_barrier_count 0
		.amdhsa_reserve_vcc 1
		.amdhsa_float_round_mode_32 0
		.amdhsa_float_round_mode_16_64 0
		.amdhsa_float_denorm_mode_32 3
		.amdhsa_float_denorm_mode_16_64 3
		.amdhsa_fp16_overflow 0
		.amdhsa_memory_ordered 1
		.amdhsa_forward_progress 1
		.amdhsa_inst_pref_size 12
		.amdhsa_round_robin_scheduling 0
		.amdhsa_exception_fp_ieee_invalid_op 0
		.amdhsa_exception_fp_denorm_src 0
		.amdhsa_exception_fp_ieee_div_zero 0
		.amdhsa_exception_fp_ieee_overflow 0
		.amdhsa_exception_fp_ieee_underflow 0
		.amdhsa_exception_fp_ieee_inexact 0
		.amdhsa_exception_int_div_zero 0
	.end_amdhsa_kernel
	.text
.Lfunc_end42:
	.size	naive_conv_ab_packed_wrw_nhwc_float_double_float, .Lfunc_end42-naive_conv_ab_packed_wrw_nhwc_float_double_float
                                        ; -- End function
	.set naive_conv_ab_packed_wrw_nhwc_float_double_float.num_vgpr, 20
	.set naive_conv_ab_packed_wrw_nhwc_float_double_float.num_agpr, 0
	.set naive_conv_ab_packed_wrw_nhwc_float_double_float.numbered_sgpr, 69
	.set naive_conv_ab_packed_wrw_nhwc_float_double_float.num_named_barrier, 0
	.set naive_conv_ab_packed_wrw_nhwc_float_double_float.private_seg_size, 0
	.set naive_conv_ab_packed_wrw_nhwc_float_double_float.uses_vcc, 1
	.set naive_conv_ab_packed_wrw_nhwc_float_double_float.uses_flat_scratch, 0
	.set naive_conv_ab_packed_wrw_nhwc_float_double_float.has_dyn_sized_stack, 0
	.set naive_conv_ab_packed_wrw_nhwc_float_double_float.has_recursion, 0
	.set naive_conv_ab_packed_wrw_nhwc_float_double_float.has_indirect_call, 0
	.section	.AMDGPU.csdata,"",@progbits
; Kernel info:
; codeLenInByte = 1416
; TotalNumSgprs: 71
; NumVgprs: 20
; ScratchSize: 0
; MemoryBound: 0
; FloatMode: 240
; IeeeMode: 1
; LDSByteSize: 0 bytes/workgroup (compile time only)
; SGPRBlocks: 0
; VGPRBlocks: 1
; NumSGPRsForWavesPerEU: 71
; NumVGPRsForWavesPerEU: 20
; NamedBarCnt: 0
; Occupancy: 16
; WaveLimiterHint : 0
; COMPUTE_PGM_RSRC2:SCRATCH_EN: 0
; COMPUTE_PGM_RSRC2:USER_SGPR: 2
; COMPUTE_PGM_RSRC2:TRAP_HANDLER: 0
; COMPUTE_PGM_RSRC2:TGID_X_EN: 1
; COMPUTE_PGM_RSRC2:TGID_Y_EN: 0
; COMPUTE_PGM_RSRC2:TGID_Z_EN: 0
; COMPUTE_PGM_RSRC2:TIDIG_COMP_CNT: 0
	.text
	.protected	naive_conv_ab_nonpacked_wrw_nhwc_float_double_float ; -- Begin function naive_conv_ab_nonpacked_wrw_nhwc_float_double_float
	.globl	naive_conv_ab_nonpacked_wrw_nhwc_float_double_float
	.p2align	8
	.type	naive_conv_ab_nonpacked_wrw_nhwc_float_double_float,@function
naive_conv_ab_nonpacked_wrw_nhwc_float_double_float: ; @naive_conv_ab_nonpacked_wrw_nhwc_float_double_float
; %bb.0:
	s_clause 0x1
	s_load_b256 s[20:27], s[0:1], 0xa0
	s_load_b128 s[52:55], s[0:1], 0xd0
	s_bfe_u32 s2, ttmp6, 0x4000c
	s_and_b32 s3, ttmp6, 15
	s_add_co_i32 s2, s2, 1
	s_getreg_b32 s4, hwreg(HW_REG_IB_STS2, 6, 4)
	s_mul_i32 s2, ttmp9, s2
	s_delay_alu instid0(SALU_CYCLE_1)
	s_add_co_i32 s3, s3, s2
	s_cmp_eq_u32 s4, 0
	s_mov_b32 s4, exec_lo
	s_cselect_b32 s28, ttmp9, s3
	s_mov_b32 s3, 0
	s_wait_kmcnt 0x0
	s_abs_i32 s29, s23
	s_mul_i32 s55, s54, s24
	s_cvt_f32_u32 s2, s29
	s_mul_i32 s33, s55, s53
	s_delay_alu instid0(SALU_CYCLE_2) | instskip(SKIP_1) | instid1(TRANS32_DEP_1)
	v_rcp_iflag_f32_e32 v1, s2
	v_nop
	v_readfirstlane_b32 s2, v1
	v_cmpx_gt_i32_e64 s33, v0
	s_cbranch_execz .LBB43_18
; %bb.1:
	s_mul_f32 s2, s2, 0x4f7ffffe
	s_mov_b32 s31, s3
	s_ashr_i32 s34, s28, 31
	s_ashr_i32 s35, s23, 31
	s_cvt_u32_f32 s4, s2
	s_sub_co_i32 s2, 0, s29
	s_load_b256 s[44:51], s[0:1], 0x68
	s_xor_b32 s34, s34, s35
	s_mul_i32 s5, s2, s4
	s_abs_i32 s2, s28
	s_mul_hi_u32 s5, s4, s5
	s_load_b256 s[36:43], s[0:1], 0x0
	s_add_co_i32 s30, s4, s5
	s_load_b512 s[4:19], s[0:1], 0x28
	s_mul_u64 s[30:31], s[2:3], s[30:31]
	s_load_b64 s[58:59], s[0:1], 0x20
	s_mul_i32 s30, s31, s29
	v_mov_b32_e32 v3, 0
	s_sub_co_i32 s2, s2, s30
	s_add_co_i32 s30, s31, 1
	s_sub_co_i32 s35, s2, s29
	s_cmp_ge_u32 s2, s29
	s_cselect_b32 s30, s30, s31
	s_cselect_b32 s2, s35, s2
	s_add_co_i32 s31, s30, 1
	s_cmp_ge_u32 s2, s29
	s_cselect_b32 s2, s31, s30
	s_delay_alu instid0(SALU_CYCLE_1)
	s_xor_b32 s2, s2, s34
	s_wait_kmcnt 0x0
	v_cmp_neq_f64_e64 s53, s[42:43], 0
	s_sub_co_i32 s30, s2, s34
	v_cmp_neq_f64_e64 s2, s[40:41], 1.0
	s_mul_i32 s23, s30, s23
	s_ashr_i32 s31, s30, 31
	s_sub_co_i32 s28, s28, s23
	s_mul_u64 s[6:7], s[6:7], s[30:31]
	s_mul_u64 s[34:35], s[46:47], s[30:31]
	;; [unrolled: 1-line block ×3, first 2 shown]
	s_ashr_i32 s29, s28, 31
	s_lshl_b64 s[50:51], s[30:31], 2
	s_mul_u64 s[30:31], s[44:45], s[28:29]
	s_mul_u64 s[28:29], s[48:49], s[28:29]
	s_lshl_b64 s[6:7], s[6:7], 2
	s_lshl_b64 s[34:35], s[34:35], 2
	;; [unrolled: 1-line block ×4, first 2 shown]
	s_cmp_lt_i32 s22, 1
	s_add_nc_u64 s[6:7], s[36:37], s[6:7]
	s_cselect_b32 s23, -1, 0
	s_cmp_gt_i32 s25, 0
	s_clause 0x1
	s_load_b32 s65, s[0:1], 0xec
	s_load_b128 s[28:31], s[0:1], 0xc0
	s_cselect_b32 s60, -1, 0
	s_cmp_gt_i32 s26, 0
	s_cselect_b32 s61, -1, 0
	s_abs_i32 s62, s24
	s_abs_i32 s63, s54
	s_cvt_f32_u32 s44, s62
	s_cvt_f32_u32 s36, s63
	s_abs_i32 s64, s55
	s_ashr_i32 s67, s24, 31
	v_rcp_iflag_f32_e32 v1, s44
	s_clause 0x1
	s_load_b64 s[70:71], s[0:1], 0x98
	s_load_b128 s[44:47], s[0:1], 0x88
	s_wait_xcnt 0x0
	s_add_nc_u64 s[0:1], s[38:39], s[34:35]
	s_cvt_f32_u32 s39, s64
	s_add_nc_u64 s[34:35], s[0:1], s[48:49]
	s_or_b32 s66, s2, s53
	s_sub_co_i32 s49, 0, s64
	v_nop
	v_readfirstlane_b32 s38, v1
	v_rcp_iflag_f32_e32 v1, s36
	v_rcp_iflag_f32_e32 v2, s39
	s_add_nc_u64 s[36:37], s[58:59], s[50:51]
	s_wait_kmcnt 0x0
	s_and_b32 s65, s65, 0xffff
	s_mul_f32 s0, s38, 0x4f7ffffe
	s_sub_co_i32 s38, 0, s62
	s_add_nc_u64 s[36:37], s[36:37], s[56:57]
	v_readfirstlane_b32 s1, v1
	s_cvt_u32_f32 s0, s0
	v_readfirstlane_b32 s2, v2
	s_mov_b32 s39, s3
	s_ashr_i32 s68, s55, 31
	s_mul_i32 s38, s38, s0
	s_mul_f32 s1, s1, 0x4f7ffffe
	s_mul_hi_u32 s38, s0, s38
	s_mov_b32 s51, s3
	s_add_co_i32 s38, s0, s38
	s_cvt_u32_f32 s0, s1
	s_mul_f32 s1, s2, 0x4f7ffffe
	s_sub_co_i32 s2, 0, s63
	s_lshl_b64 s[54:55], s[70:71], 2
	s_mul_i32 s2, s2, s0
	s_cvt_u32_f32 s1, s1
	s_mul_hi_u32 s2, s0, s2
	s_lshl_b64 s[46:47], s[46:47], 2
	s_add_co_i32 s48, s0, s2
	s_mul_i32 s0, s49, s1
	s_mov_b32 s49, s3
	s_mul_hi_u32 s0, s1, s0
	s_lshl_b64 s[44:45], s[44:45], 2
	s_add_co_i32 s50, s1, s0
	s_sub_co_i32 s69, 0, s52
	s_mov_b32 s70, 0
	s_branch .LBB43_3
.LBB43_2:                               ;   in Loop: Header=BB43_3 Depth=1
	s_delay_alu instid0(VALU_DEP_1) | instskip(SKIP_1) | instid1(VALU_DEP_1)
	v_cvt_f32_f64_e32 v1, v[6:7]
	v_add_nc_u32_e32 v0, s65, v0
	v_cmp_le_i32_e32 vcc_lo, s33, v0
	s_or_b32 s70, vcc_lo, s70
	global_store_b32 v[4:5], v1, off
	s_wait_xcnt 0x0
	s_and_not1_b32 exec_lo, exec_lo, s70
	s_cbranch_execz .LBB43_18
.LBB43_3:                               ; =>This Loop Header: Depth=1
                                        ;     Child Loop BB43_8 Depth 2
                                        ;       Child Loop BB43_11 Depth 3
                                        ;         Child Loop BB43_14 Depth 4
	v_sub_nc_u32_e32 v1, 0, v0
	s_mov_b32 s52, -1
	s_delay_alu instid0(VALU_DEP_1) | instskip(NEXT) | instid1(VALU_DEP_1)
	v_max_i32_e32 v2, v0, v1
	v_mul_u64_e32 v[4:5], s[38:39], v[2:3]
	s_delay_alu instid0(VALU_DEP_1) | instskip(NEXT) | instid1(VALU_DEP_1)
	v_mul_lo_u32 v1, v5, s62
	v_sub_nc_u32_e32 v4, v2, v1
	v_add_nc_u32_e32 v1, 1, v5
	s_delay_alu instid0(VALU_DEP_2) | instskip(NEXT) | instid1(VALU_DEP_2)
	v_cmp_le_u32_e32 vcc_lo, s62, v4
	v_dual_cndmask_b32 v5, v5, v1, vcc_lo :: v_dual_ashrrev_i32 v1, 31, v0
	v_subrev_nc_u32_e32 v6, s62, v4
	s_delay_alu instid0(VALU_DEP_1) | instskip(NEXT) | instid1(VALU_DEP_1)
	v_dual_cndmask_b32 v4, v4, v6, vcc_lo :: v_dual_add_nc_u32 v6, 1, v5
	v_cmp_le_u32_e32 vcc_lo, s62, v4
	s_delay_alu instid0(VALU_DEP_2) | instskip(NEXT) | instid1(VALU_DEP_1)
	v_dual_cndmask_b32 v4, v5, v6, vcc_lo :: v_dual_bitop2_b32 v7, s67, v1 bitop3:0x14
	v_dual_mov_b32 v5, v3 :: v_dual_bitop2_b32 v4, v4, v7 bitop3:0x14
	s_delay_alu instid0(VALU_DEP_1) | instskip(SKIP_1) | instid1(VALU_DEP_2)
	v_sub_nc_u32_e32 v8, v4, v7
	v_mul_u64_e32 v[6:7], s[50:51], v[2:3]
	v_sub_nc_u32_e32 v4, 0, v8
	s_delay_alu instid0(VALU_DEP_1) | instskip(NEXT) | instid1(VALU_DEP_1)
	v_max_i32_e32 v4, v8, v4
	v_mul_u64_e32 v[10:11], s[48:49], v[4:5]
	s_delay_alu instid0(VALU_DEP_4) | instskip(NEXT) | instid1(VALU_DEP_1)
	v_mul_lo_u32 v5, v7, s64
	v_sub_nc_u32_e32 v2, v2, v5
	v_mul_lo_u32 v5, v8, s24
	s_delay_alu instid0(VALU_DEP_4) | instskip(NEXT) | instid1(VALU_DEP_3)
	v_mul_lo_u32 v6, v11, s63
	v_cmp_le_u32_e64 s0, s64, v2
	s_delay_alu instid0(VALU_DEP_2) | instskip(SKIP_1) | instid1(VALU_DEP_2)
	v_sub_nc_u32_e32 v4, v4, v6
	v_subrev_nc_u32_e32 v6, s64, v2
	v_subrev_nc_u32_e32 v9, s63, v4
	v_cmp_le_u32_e32 vcc_lo, s63, v4
	s_delay_alu instid0(VALU_DEP_2) | instskip(SKIP_1) | instid1(VALU_DEP_2)
	v_dual_cndmask_b32 v6, v2, v6, s0 :: v_dual_cndmask_b32 v2, v4, v9, vcc_lo
	v_sub_nc_u32_e32 v4, v0, v5
	v_cmp_le_u32_e64 s1, s64, v6
	s_and_not1_b32 vcc_lo, exec_lo, s23
	v_ashrrev_i32_e32 v5, 31, v4
	v_cmp_le_u32_e64 s2, s63, v2
	s_cbranch_vccnz .LBB43_5
; %bb.4:                                ;   in Loop: Header=BB43_3 Depth=1
	s_mov_b32 s52, 0
.LBB43_5:                               ;   in Loop: Header=BB43_3 Depth=1
	v_dual_add_nc_u32 v6, 1, v7 :: v_dual_ashrrev_i32 v8, 31, v8
	s_and_not1_b32 vcc_lo, exec_lo, s52
	s_delay_alu instid0(VALU_DEP_1) | instskip(SKIP_1) | instid1(VALU_DEP_1)
	v_dual_cndmask_b32 v6, v7, v6, s0 :: v_dual_bitop2_b32 v1, s68, v1 bitop3:0x14
	v_subrev_nc_u32_e32 v7, s63, v2
	v_dual_cndmask_b32 v2, v2, v7, s2 :: v_dual_add_nc_u32 v9, 1, v6
	s_delay_alu instid0(VALU_DEP_1) | instskip(NEXT) | instid1(VALU_DEP_1)
	v_cndmask_b32_e64 v6, v6, v9, s1
	v_xor_b32_e32 v9, v6, v1
	s_delay_alu instid0(VALU_DEP_3) | instskip(SKIP_1) | instid1(VALU_DEP_2)
	v_xor_b32_e32 v2, v2, v8
	v_mov_b64_e32 v[6:7], 0
	v_dual_sub_nc_u32 v10, v9, v1 :: v_dual_sub_nc_u32 v8, v2, v8
	s_cbranch_vccnz .LBB43_16
; %bb.6:                                ;   in Loop: Header=BB43_3 Depth=1
	v_mul_u64_e32 v[12:13], s[4:5], v[4:5]
	s_delay_alu instid0(VALU_DEP_2) | instskip(NEXT) | instid1(VALU_DEP_3)
	v_mul_lo_u32 v1, v10, s29
	v_mad_u32 v9, v8, s30, s69
	v_mov_b64_e32 v[6:7], 0
	s_mov_b32 s2, 0
	s_mov_b64 s[52:53], s[36:37]
	s_delay_alu instid0(VALU_DEP_4)
	v_lshl_add_u64 v[12:13], v[12:13], 2, s[6:7]
	s_branch .LBB43_8
.LBB43_7:                               ;   in Loop: Header=BB43_8 Depth=2
	s_add_co_i32 s2, s2, 1
	s_add_nc_u64 s[52:53], s[52:53], s[54:55]
	s_cmp_eq_u32 s2, s22
	s_cbranch_scc1 .LBB43_16
.LBB43_8:                               ;   Parent Loop BB43_3 Depth=1
                                        ; =>  This Loop Header: Depth=2
                                        ;       Child Loop BB43_11 Depth 3
                                        ;         Child Loop BB43_14 Depth 4
	s_and_not1_b32 vcc_lo, exec_lo, s60
	s_cbranch_vccnz .LBB43_7
; %bb.9:                                ;   in Loop: Header=BB43_8 Depth=2
	s_mul_u64 s[0:1], s[12:13], s[2:3]
	s_mov_b64 s[56:57], s[52:53]
	v_lshl_add_u64 v[14:15], s[0:1], 2, v[12:13]
	s_mov_b32 s1, 0
	s_branch .LBB43_11
.LBB43_10:                              ;   in Loop: Header=BB43_11 Depth=3
	s_add_co_i32 s1, s1, 1
	s_add_nc_u64 s[56:57], s[56:57], s[46:47]
	s_cmp_eq_u32 s1, s25
	s_cbranch_scc1 .LBB43_7
.LBB43_11:                              ;   Parent Loop BB43_3 Depth=1
                                        ;     Parent Loop BB43_8 Depth=2
                                        ; =>    This Loop Header: Depth=3
                                        ;         Child Loop BB43_14 Depth 4
	s_and_not1_b32 vcc_lo, exec_lo, s61
	s_cbranch_vccnz .LBB43_10
; %bb.12:                               ;   in Loop: Header=BB43_11 Depth=3
	s_mul_i32 s0, s1, s27
	s_mov_b64 s[58:59], s[56:57]
	s_sub_co_i32 s0, s0, s31
	s_mov_b32 s72, s26
	v_add_nc_u32_e32 v2, s0, v1
	s_delay_alu instid0(VALU_DEP_1)
	v_mul_u64_e32 v[16:17], s[10:11], v[2:3]
	v_cmp_gt_i32_e32 vcc_lo, 0, v2
	v_cmp_le_i32_e64 s0, s20, v2
	v_mov_b32_e32 v2, v9
	s_or_b32 s71, vcc_lo, s0
	v_lshl_add_u64 v[16:17], v[16:17], 2, v[14:15]
	s_branch .LBB43_14
.LBB43_13:                              ;   in Loop: Header=BB43_14 Depth=4
	s_or_b32 exec_lo, exec_lo, s0
	v_add_nc_u32_e32 v2, s28, v2
	s_add_co_i32 s72, s72, -1
	s_add_nc_u64 s[58:59], s[58:59], s[44:45]
	s_cmp_eq_u32 s72, 0
	s_cbranch_scc1 .LBB43_10
.LBB43_14:                              ;   Parent Loop BB43_3 Depth=1
                                        ;     Parent Loop BB43_8 Depth=2
                                        ;       Parent Loop BB43_11 Depth=3
                                        ; =>      This Inner Loop Header: Depth=4
	s_delay_alu instid0(VALU_DEP_2) | instskip(SKIP_2) | instid1(SALU_CYCLE_1)
	v_cmp_gt_i32_e32 vcc_lo, 0, v2
	v_cmp_le_i32_e64 s0, s21, v2
	s_or_b32 s0, vcc_lo, s0
	s_nor_b32 s73, s71, s0
	s_delay_alu instid0(SALU_CYCLE_1)
	s_and_saveexec_b32 s0, s73
	s_cbranch_execz .LBB43_13
; %bb.15:                               ;   in Loop: Header=BB43_14 Depth=4
	v_mul_u64_e32 v[18:19], s[8:9], v[2:3]
	s_load_b32 s73, s[58:59], 0x0
	s_wait_kmcnt 0x0
	v_cvt_f64_f32_e32 v[20:21], s73
	s_delay_alu instid0(VALU_DEP_2) | instskip(SKIP_4) | instid1(VALU_DEP_1)
	v_lshl_add_u64 v[18:19], v[18:19], 2, v[16:17]
	global_load_b32 v11, v[18:19], off
	s_wait_loadcnt 0x0
	s_wait_xcnt 0x0
	v_cvt_f64_f32_e32 v[18:19], v11
	v_fmac_f64_e32 v[6:7], v[18:19], v[20:21]
	s_branch .LBB43_13
.LBB43_16:                              ;   in Loop: Header=BB43_3 Depth=1
	s_delay_alu instid0(VALU_DEP_1) | instskip(SKIP_2) | instid1(VALU_DEP_2)
	v_dual_ashrrev_i32 v11, 31, v10 :: v_dual_ashrrev_i32 v9, 31, v8
	v_mul_u64_e32 v[4:5], s[14:15], v[4:5]
	s_and_not1_b32 vcc_lo, exec_lo, s66
	v_mul_u64_e32 v[10:11], s[18:19], v[10:11]
	s_delay_alu instid0(VALU_DEP_3) | instskip(NEXT) | instid1(VALU_DEP_2)
	v_mul_u64_e32 v[8:9], s[16:17], v[8:9]
	v_lshl_add_u64 v[10:11], v[10:11], 2, s[34:35]
	s_delay_alu instid0(VALU_DEP_1) | instskip(NEXT) | instid1(VALU_DEP_1)
	v_lshl_add_u64 v[8:9], v[8:9], 2, v[10:11]
	v_lshl_add_u64 v[4:5], v[4:5], 2, v[8:9]
	s_cbranch_vccnz .LBB43_2
; %bb.17:                               ;   in Loop: Header=BB43_3 Depth=1
	global_load_b32 v1, v[4:5], off
	s_wait_loadcnt 0x0
	v_cvt_f64_f32_e32 v[8:9], v1
	s_delay_alu instid0(VALU_DEP_1) | instskip(NEXT) | instid1(VALU_DEP_1)
	v_mul_f64_e32 v[8:9], s[42:43], v[8:9]
	v_fmac_f64_e32 v[8:9], s[40:41], v[6:7]
	s_delay_alu instid0(VALU_DEP_1)
	v_mov_b64_e32 v[6:7], v[8:9]
	s_branch .LBB43_2
.LBB43_18:
	s_endpgm
	.section	.rodata,"a",@progbits
	.p2align	6, 0x0
	.amdhsa_kernel naive_conv_ab_nonpacked_wrw_nhwc_float_double_float
		.amdhsa_group_segment_fixed_size 0
		.amdhsa_private_segment_fixed_size 0
		.amdhsa_kernarg_size 480
		.amdhsa_user_sgpr_count 2
		.amdhsa_user_sgpr_dispatch_ptr 0
		.amdhsa_user_sgpr_queue_ptr 0
		.amdhsa_user_sgpr_kernarg_segment_ptr 1
		.amdhsa_user_sgpr_dispatch_id 0
		.amdhsa_user_sgpr_kernarg_preload_length 0
		.amdhsa_user_sgpr_kernarg_preload_offset 0
		.amdhsa_user_sgpr_private_segment_size 0
		.amdhsa_wavefront_size32 1
		.amdhsa_uses_dynamic_stack 0
		.amdhsa_enable_private_segment 0
		.amdhsa_system_sgpr_workgroup_id_x 1
		.amdhsa_system_sgpr_workgroup_id_y 0
		.amdhsa_system_sgpr_workgroup_id_z 0
		.amdhsa_system_sgpr_workgroup_info 0
		.amdhsa_system_vgpr_workitem_id 0
		.amdhsa_next_free_vgpr 22
		.amdhsa_next_free_sgpr 74
		.amdhsa_named_barrier_count 0
		.amdhsa_reserve_vcc 1
		.amdhsa_float_round_mode_32 0
		.amdhsa_float_round_mode_16_64 0
		.amdhsa_float_denorm_mode_32 3
		.amdhsa_float_denorm_mode_16_64 3
		.amdhsa_fp16_overflow 0
		.amdhsa_memory_ordered 1
		.amdhsa_forward_progress 1
		.amdhsa_inst_pref_size 12
		.amdhsa_round_robin_scheduling 0
		.amdhsa_exception_fp_ieee_invalid_op 0
		.amdhsa_exception_fp_denorm_src 0
		.amdhsa_exception_fp_ieee_div_zero 0
		.amdhsa_exception_fp_ieee_overflow 0
		.amdhsa_exception_fp_ieee_underflow 0
		.amdhsa_exception_fp_ieee_inexact 0
		.amdhsa_exception_int_div_zero 0
	.end_amdhsa_kernel
	.text
.Lfunc_end43:
	.size	naive_conv_ab_nonpacked_wrw_nhwc_float_double_float, .Lfunc_end43-naive_conv_ab_nonpacked_wrw_nhwc_float_double_float
                                        ; -- End function
	.set naive_conv_ab_nonpacked_wrw_nhwc_float_double_float.num_vgpr, 22
	.set naive_conv_ab_nonpacked_wrw_nhwc_float_double_float.num_agpr, 0
	.set naive_conv_ab_nonpacked_wrw_nhwc_float_double_float.numbered_sgpr, 74
	.set naive_conv_ab_nonpacked_wrw_nhwc_float_double_float.num_named_barrier, 0
	.set naive_conv_ab_nonpacked_wrw_nhwc_float_double_float.private_seg_size, 0
	.set naive_conv_ab_nonpacked_wrw_nhwc_float_double_float.uses_vcc, 1
	.set naive_conv_ab_nonpacked_wrw_nhwc_float_double_float.uses_flat_scratch, 0
	.set naive_conv_ab_nonpacked_wrw_nhwc_float_double_float.has_dyn_sized_stack, 0
	.set naive_conv_ab_nonpacked_wrw_nhwc_float_double_float.has_recursion, 0
	.set naive_conv_ab_nonpacked_wrw_nhwc_float_double_float.has_indirect_call, 0
	.section	.AMDGPU.csdata,"",@progbits
; Kernel info:
; codeLenInByte = 1432
; TotalNumSgprs: 76
; NumVgprs: 22
; ScratchSize: 0
; MemoryBound: 0
; FloatMode: 240
; IeeeMode: 1
; LDSByteSize: 0 bytes/workgroup (compile time only)
; SGPRBlocks: 0
; VGPRBlocks: 1
; NumSGPRsForWavesPerEU: 76
; NumVGPRsForWavesPerEU: 22
; NamedBarCnt: 0
; Occupancy: 16
; WaveLimiterHint : 0
; COMPUTE_PGM_RSRC2:SCRATCH_EN: 0
; COMPUTE_PGM_RSRC2:USER_SGPR: 2
; COMPUTE_PGM_RSRC2:TRAP_HANDLER: 0
; COMPUTE_PGM_RSRC2:TGID_X_EN: 1
; COMPUTE_PGM_RSRC2:TGID_Y_EN: 0
; COMPUTE_PGM_RSRC2:TGID_Z_EN: 0
; COMPUTE_PGM_RSRC2:TIDIG_COMP_CNT: 0
	.text
	.protected	naive_conv_ab_packed_wrw_nhwc_half_double_half ; -- Begin function naive_conv_ab_packed_wrw_nhwc_half_double_half
	.globl	naive_conv_ab_packed_wrw_nhwc_half_double_half
	.p2align	8
	.type	naive_conv_ab_packed_wrw_nhwc_half_double_half,@function
naive_conv_ab_packed_wrw_nhwc_half_double_half: ; @naive_conv_ab_packed_wrw_nhwc_half_double_half
; %bb.0:
	s_load_b512 s[4:19], s[0:1], 0xa0
	s_bfe_u32 s2, ttmp6, 0x4000c
	s_and_b32 s3, ttmp6, 15
	s_add_co_i32 s2, s2, 1
	s_getreg_b32 s20, hwreg(HW_REG_IB_STS2, 6, 4)
	s_mul_i32 s2, ttmp9, s2
	s_delay_alu instid0(SALU_CYCLE_1)
	s_add_co_i32 s3, s3, s2
	s_cmp_eq_u32 s20, 0
	s_mov_b32 s20, exec_lo
	s_cselect_b32 s36, ttmp9, s3
	s_mov_b32 s3, 0
	s_wait_kmcnt 0x0
	s_abs_i32 s29, s7
	s_mul_i32 s44, s18, s8
	s_cvt_f32_u32 s2, s29
	s_mul_i32 s33, s44, s17
	s_delay_alu instid0(SALU_CYCLE_2) | instskip(SKIP_1) | instid1(TRANS32_DEP_1)
	v_rcp_iflag_f32_e32 v1, s2
	v_nop
	v_readfirstlane_b32 s2, v1
	v_cmpx_gt_i32_e64 s33, v0
	s_cbranch_execz .LBB44_20
; %bb.1:
	s_mul_f32 s2, s2, 0x4f7ffffe
	s_mov_b32 s31, s3
	s_ashr_i32 s37, s36, 31
	s_ashr_i32 s39, s7, 31
	s_cvt_u32_f32 s28, s2
	s_sub_co_i32 s2, 0, s29
	s_xor_b32 s37, s37, s39
	s_clause 0x1
	s_load_b256 s[20:27], s[0:1], 0x0
	s_load_b64 s[34:35], s[0:1], 0x20
	s_mul_i32 s30, s2, s28
	s_abs_i32 s2, s36
	s_mul_hi_u32 s30, s28, s30
	s_mov_b32 s38, s7
	s_add_co_i32 s30, s28, s30
	s_mov_b32 s28, s8
	s_mul_u64 s[30:31], s[2:3], s[30:31]
	s_mov_b32 s40, s17
	s_mul_i32 s30, s31, s29
	s_mov_b32 s48, s10
	s_sub_co_i32 s2, s2, s30
	s_add_co_i32 s30, s31, 1
	s_sub_co_i32 s41, s2, s29
	s_cmp_ge_u32 s2, s29
	v_mov_b32_e32 v3, 0
	s_cselect_b32 s31, s30, s31
	s_cselect_b32 s2, s41, s2
	s_add_co_i32 s41, s31, 1
	s_cmp_ge_u32 s2, s29
	s_mov_b32 s30, s18
	s_cselect_b32 s2, s41, s31
	s_ashr_i32 s29, s8, 31
	s_xor_b32 s2, s2, s37
	s_ashr_i32 s41, s17, 31
	s_sub_co_i32 s42, s2, s37
	s_ashr_i32 s31, s18, 31
	s_mul_i32 s2, s42, s7
	s_ashr_i32 s43, s42, 31
	s_sub_co_i32 s36, s36, s2
	s_mul_u64 s[38:39], s[42:43], s[38:39]
	s_mul_u64 s[42:43], s[42:43], s[28:29]
	;; [unrolled: 1-line block ×3, first 2 shown]
	s_ashr_i32 s37, s36, 31
	s_lshl_b64 s[42:43], s[42:43], 1
	s_mul_u64 s[40:41], s[40:41], s[30:31]
	s_add_nc_u64 s[46:47], s[38:39], s[36:37]
	s_wait_kmcnt 0x0
	s_add_nc_u64 s[20:21], s[20:21], s[42:43]
	v_cmp_neq_f64_e64 s17, s[24:25], 1.0
	v_cmp_neq_f64_e64 s42, s[26:27], 0
	s_mul_u64 s[40:41], s[40:41], s[46:47]
	s_lshl_b64 s[38:39], s[38:39], 1
	s_lshl_b64 s[40:41], s[40:41], 1
	s_load_b32 s2, s[0:1], 0xec
	s_wait_xcnt 0x0
	s_add_nc_u64 s[0:1], s[34:35], s[38:39]
	s_lshl_b64 s[34:35], s[36:37], 1
	s_cmp_lt_i32 s6, 1
	s_add_nc_u64 s[34:35], s[0:1], s[34:35]
	s_cselect_b32 s31, -1, 0
	s_cmp_gt_i32 s9, 0
	s_mul_i32 s36, s19, s8
	s_cselect_b32 s58, -1, 0
	s_cmp_gt_i32 s10, 0
	s_mul_i32 s0, s19, s7
	s_cselect_b32 s7, -1, 0
	s_abs_i32 s8, s8
	s_abs_i32 s59, s18
	s_cvt_f32_u32 s1, s8
	s_abs_i32 s60, s44
	s_ashr_i32 s49, s10, 31
	s_cvt_f32_u32 s19, s60
	v_rcp_iflag_f32_e32 v1, s1
	s_cvt_f32_u32 s1, s59
	s_wait_kmcnt 0x0
	s_and_b32 s62, s2, 0xffff
	s_sub_co_i32 s2, 0, s8
	s_ashr_i32 s47, s9, 31
	v_rcp_iflag_f32_e32 v2, s1
	s_ashr_i32 s1, s0, 31
	v_readfirstlane_b32 s18, v1
	v_rcp_iflag_f32_e32 v1, s19
	s_mov_b32 s46, s9
	s_or_b32 s61, s17, s42
	s_mul_u64 s[48:49], s[48:49], s[0:1]
	s_mul_f32 s18, s18, 0x4f7ffffe
	v_readfirstlane_b32 s43, v2
	s_mul_u64 s[46:47], s[48:49], s[46:47]
	v_readfirstlane_b32 s19, v1
	s_cvt_u32_f32 s17, s18
	v_mov_b32_e32 v1, 0x7e00
	s_mul_f32 s18, s43, 0x4f7ffffe
	s_add_nc_u64 s[22:23], s[22:23], s[40:41]
	s_mul_i32 s2, s2, s17
	s_ashr_i32 s39, s4, 31
	s_mul_hi_u32 s2, s17, s2
	s_cvt_u32_f32 s42, s18
	s_add_co_i32 s18, s17, s2
	s_sub_co_i32 s2, 0, s59
	s_mul_f32 s17, s19, 0x4f7ffffe
	s_mul_i32 s2, s2, s42
	s_mov_b32 s38, s4
	s_mul_hi_u32 s2, s42, s2
	s_cvt_u32_f32 s17, s17
	s_add_co_i32 s42, s42, s2
	s_sub_co_i32 s2, 0, s60
	s_ashr_i32 s41, s5, 31
	s_mul_i32 s2, s2, s17
	s_mov_b32 s40, s5
	s_mul_hi_u32 s2, s17, s2
	s_ashr_i32 s37, s36, 31
	s_mov_b32 s19, s3
	s_mov_b32 s43, s3
	s_ashr_i32 s63, s44, 31
	s_add_co_i32 s44, s17, s2
	s_mov_b32 s45, s3
	s_lshl_b64 s[46:47], s[46:47], 1
	s_lshl_b64 s[48:49], s[48:49], 1
	;; [unrolled: 1-line block ×3, first 2 shown]
	s_sub_co_i32 s64, 0, s16
	s_mov_b32 s65, 0
	s_branch .LBB44_3
.LBB44_2:                               ;   in Loop: Header=BB44_3 Depth=1
	v_add_nc_u32_e32 v0, s62, v0
	s_delay_alu instid0(VALU_DEP_1)
	v_cmp_le_i32_e32 vcc_lo, s33, v0
	s_or_b32 s65, vcc_lo, s65
	s_wait_xcnt 0x0
	s_and_not1_b32 exec_lo, exec_lo, s65
	s_cbranch_execz .LBB44_20
.LBB44_3:                               ; =>This Loop Header: Depth=1
                                        ;     Child Loop BB44_8 Depth 2
                                        ;       Child Loop BB44_11 Depth 3
                                        ;         Child Loop BB44_14 Depth 4
	v_sub_nc_u32_e32 v2, 0, v0
	s_mov_b32 s16, -1
	s_delay_alu instid0(VALU_DEP_1) | instskip(NEXT) | instid1(VALU_DEP_1)
	v_dual_ashrrev_i32 v8, 31, v0 :: v_dual_max_i32 v2, v0, v2
	v_mul_u64_e32 v[4:5], s[18:19], v[2:3]
	s_delay_alu instid0(VALU_DEP_1) | instskip(NEXT) | instid1(VALU_DEP_1)
	v_mul_lo_u32 v4, v5, s8
	v_dual_add_nc_u32 v6, 1, v5 :: v_dual_sub_nc_u32 v4, v2, v4
	s_delay_alu instid0(VALU_DEP_1) | instskip(NEXT) | instid1(VALU_DEP_2)
	v_cmp_le_u32_e32 vcc_lo, s8, v4
	v_cndmask_b32_e32 v5, v5, v6, vcc_lo
	v_subrev_nc_u32_e32 v7, s8, v4
	s_delay_alu instid0(VALU_DEP_1) | instskip(NEXT) | instid1(VALU_DEP_1)
	v_dual_add_nc_u32 v6, 1, v5 :: v_dual_cndmask_b32 v4, v4, v7, vcc_lo
	v_cmp_le_u32_e32 vcc_lo, s8, v4
	s_delay_alu instid0(VALU_DEP_2) | instskip(NEXT) | instid1(VALU_DEP_1)
	v_dual_cndmask_b32 v4, v5, v6, vcc_lo :: v_dual_bitop2_b32 v7, s29, v8 bitop3:0x14
	v_xor_b32_e32 v4, v4, v7
	s_delay_alu instid0(VALU_DEP_1) | instskip(NEXT) | instid1(VALU_DEP_1)
	v_dual_sub_nc_u32 v9, v4, v7 :: v_dual_mov_b32 v7, v3
	v_sub_nc_u32_e32 v4, 0, v9
	s_delay_alu instid0(VALU_DEP_1) | instskip(SKIP_1) | instid1(VALU_DEP_2)
	v_max_i32_e32 v6, v9, v4
	v_mul_u64_e32 v[4:5], s[44:45], v[2:3]
	v_mul_u64_e32 v[10:11], s[42:43], v[6:7]
	s_delay_alu instid0(VALU_DEP_2) | instskip(NEXT) | instid1(VALU_DEP_2)
	v_mul_lo_u32 v4, v5, s60
	v_mul_lo_u32 v7, v11, s59
	s_delay_alu instid0(VALU_DEP_2) | instskip(SKIP_1) | instid1(VALU_DEP_3)
	v_sub_nc_u32_e32 v2, v2, v4
	v_mul_lo_u32 v4, v9, s28
	v_sub_nc_u32_e32 v6, v6, v7
	s_delay_alu instid0(VALU_DEP_3) | instskip(SKIP_1) | instid1(VALU_DEP_3)
	v_subrev_nc_u32_e32 v7, s60, v2
	v_cmp_le_u32_e64 s0, s60, v2
	v_subrev_nc_u32_e32 v10, s59, v6
	v_cmp_le_u32_e32 vcc_lo, s59, v6
	s_delay_alu instid0(VALU_DEP_3) | instskip(NEXT) | instid1(VALU_DEP_3)
	v_cndmask_b32_e64 v7, v2, v7, s0
	v_dual_cndmask_b32 v2, v6, v10, vcc_lo :: v_dual_sub_nc_u32 v6, v0, v4
	s_delay_alu instid0(VALU_DEP_2)
	v_cmp_le_u32_e64 s1, s60, v7
	s_and_not1_b32 vcc_lo, exec_lo, s31
	v_cmp_le_u32_e64 s2, s59, v2
	v_ashrrev_i32_e32 v7, 31, v6
	s_cbranch_vccnz .LBB44_5
; %bb.4:                                ;   in Loop: Header=BB44_3 Depth=1
	s_mov_b32 s16, 0
.LBB44_5:                               ;   in Loop: Header=BB44_3 Depth=1
	v_add_nc_u32_e32 v4, 1, v5
	s_and_not1_b32 vcc_lo, exec_lo, s16
	s_delay_alu instid0(VALU_DEP_1) | instskip(SKIP_1) | instid1(VALU_DEP_1)
	v_dual_ashrrev_i32 v9, 31, v9 :: v_dual_cndmask_b32 v4, v5, v4, s0
	v_subrev_nc_u32_e32 v5, s59, v2
	v_dual_cndmask_b32 v2, v2, v5, s2 :: v_dual_add_nc_u32 v10, 1, v4
	s_delay_alu instid0(VALU_DEP_1) | instskip(NEXT) | instid1(VALU_DEP_2)
	v_xor_b32_e32 v2, v2, v9
	v_dual_cndmask_b32 v4, v4, v10, s1 :: v_dual_bitop2_b32 v11, s63, v8 bitop3:0x14
	s_delay_alu instid0(VALU_DEP_1) | instskip(SKIP_1) | instid1(VALU_DEP_2)
	v_dual_sub_nc_u32 v8, v2, v9 :: v_dual_bitop2_b32 v10, v4, v11 bitop3:0x14
	v_mov_b64_e32 v[4:5], 0
	v_sub_nc_u32_e32 v14, v10, v11
	s_cbranch_vccnz .LBB44_16
; %bb.6:                                ;   in Loop: Header=BB44_3 Depth=1
	s_delay_alu instid0(VALU_DEP_1)
	v_mul_lo_u32 v9, v14, s13
	v_mad_u32 v15, v8, s14, s64
	v_mov_b64_e32 v[4:5], 0
	v_lshl_add_u64 v[10:11], v[6:7], 1, s[20:21]
	s_mov_b32 s2, 0
	s_mov_b64 s[16:17], s[34:35]
	s_branch .LBB44_8
.LBB44_7:                               ;   in Loop: Header=BB44_8 Depth=2
	s_add_co_i32 s2, s2, 1
	s_add_nc_u64 s[16:17], s[16:17], s[46:47]
	s_cmp_eq_u32 s2, s6
	s_cbranch_scc1 .LBB44_16
.LBB44_8:                               ;   Parent Loop BB44_3 Depth=1
                                        ; =>  This Loop Header: Depth=2
                                        ;       Child Loop BB44_11 Depth 3
                                        ;         Child Loop BB44_14 Depth 4
	s_and_not1_b32 vcc_lo, exec_lo, s58
	s_cbranch_vccnz .LBB44_7
; %bb.9:                                ;   in Loop: Header=BB44_8 Depth=2
	s_mul_u64 s[52:53], s[2:3], s[38:39]
	s_mov_b32 s1, 0
	s_mov_b64 s[54:55], s[16:17]
	s_branch .LBB44_11
.LBB44_10:                              ;   in Loop: Header=BB44_11 Depth=3
	s_add_co_i32 s1, s1, 1
	s_add_nc_u64 s[54:55], s[54:55], s[48:49]
	s_cmp_eq_u32 s1, s9
	s_cbranch_scc1 .LBB44_7
.LBB44_11:                              ;   Parent Loop BB44_3 Depth=1
                                        ;     Parent Loop BB44_8 Depth=2
                                        ; =>    This Loop Header: Depth=3
                                        ;         Child Loop BB44_14 Depth 4
	s_and_not1_b32 vcc_lo, exec_lo, s7
	s_cbranch_vccnz .LBB44_10
; %bb.12:                               ;   in Loop: Header=BB44_11 Depth=3
	s_mul_i32 s0, s1, s11
	s_mov_b64 s[56:57], s[54:55]
	s_sub_co_i32 s0, s0, s15
	s_mov_b32 s67, s10
	v_add_nc_u32_e32 v2, s0, v9
	s_delay_alu instid0(VALU_DEP_1)
	v_add_nc_u64_e32 v[12:13], s[52:53], v[2:3]
	v_cmp_gt_i32_e32 vcc_lo, 0, v2
	v_cmp_le_i32_e64 s0, s4, v2
	v_mov_b32_e32 v2, v15
	s_or_b32 s66, vcc_lo, s0
	v_mul_u64_e32 v[12:13], s[40:41], v[12:13]
	s_branch .LBB44_14
.LBB44_13:                              ;   in Loop: Header=BB44_14 Depth=4
	s_wait_xcnt 0x0
	s_or_b32 exec_lo, exec_lo, s0
	v_add_nc_u32_e32 v2, s12, v2
	s_add_co_i32 s67, s67, -1
	s_add_nc_u64 s[56:57], s[56:57], s[50:51]
	s_cmp_eq_u32 s67, 0
	s_cbranch_scc1 .LBB44_10
.LBB44_14:                              ;   Parent Loop BB44_3 Depth=1
                                        ;     Parent Loop BB44_8 Depth=2
                                        ;       Parent Loop BB44_11 Depth=3
                                        ; =>      This Inner Loop Header: Depth=4
	s_delay_alu instid0(VALU_DEP_2) | instskip(SKIP_2) | instid1(SALU_CYCLE_1)
	v_cmp_gt_i32_e32 vcc_lo, 0, v2
	v_cmp_le_i32_e64 s0, s5, v2
	s_or_b32 s0, vcc_lo, s0
	s_nor_b32 s68, s66, s0
	s_delay_alu instid0(SALU_CYCLE_1)
	s_and_saveexec_b32 s0, s68
	s_cbranch_execz .LBB44_13
; %bb.15:                               ;   in Loop: Header=BB44_14 Depth=4
	v_add_nc_u64_e32 v[16:17], v[12:13], v[2:3]
	s_delay_alu instid0(VALU_DEP_1) | instskip(NEXT) | instid1(VALU_DEP_1)
	v_mul_u64_e32 v[16:17], s[36:37], v[16:17]
	v_lshl_add_u64 v[16:17], v[16:17], 1, v[10:11]
	global_load_u16 v16, v[16:17], off
	global_load_u16 v17, v3, s[56:57]
	s_wait_loadcnt 0x1
	v_cvt_f32_f16_e32 v16, v16
	s_wait_loadcnt 0x0
	v_cvt_f32_f16_e32 v18, v17
	s_delay_alu instid0(VALU_DEP_2) | instskip(NEXT) | instid1(VALU_DEP_2)
	v_cvt_f64_f32_e32 v[16:17], v16
	v_cvt_f64_f32_e32 v[18:19], v18
	s_delay_alu instid0(VALU_DEP_1)
	v_fmac_f64_e32 v[4:5], v[16:17], v[18:19]
	s_branch .LBB44_13
.LBB44_16:                              ;   in Loop: Header=BB44_3 Depth=1
	s_delay_alu instid0(VALU_DEP_3) | instskip(SKIP_2) | instid1(VALU_DEP_1)
	v_ashrrev_i32_e32 v9, 31, v8
	s_and_b32 vcc_lo, exec_lo, s61
	s_mov_b32 s0, -1
	v_mad_nc_i64_i32 v[8:9], v14, s30, v[8:9]
	s_delay_alu instid0(VALU_DEP_1) | instskip(NEXT) | instid1(VALU_DEP_1)
	v_mad_nc_u64_u32 v[6:7], v8, s28, v[6:7]
	v_mad_u32 v2, v9, s28, v7
	s_delay_alu instid0(VALU_DEP_1) | instskip(NEXT) | instid1(VALU_DEP_1)
	v_mad_u32 v7, v8, s29, v2
	v_lshl_add_u64 v[6:7], v[6:7], 1, s[22:23]
	s_cbranch_vccz .LBB44_18
; %bb.17:                               ;   in Loop: Header=BB44_3 Depth=1
	global_load_u16 v2, v[6:7], off
	s_mov_b32 s0, 0
	s_wait_loadcnt 0x0
	v_cvt_f32_f16_e32 v2, v2
	s_delay_alu instid0(VALU_DEP_1) | instskip(NEXT) | instid1(VALU_DEP_1)
	v_cvt_f64_f32_e32 v[8:9], v2
	v_mul_f64_e32 v[8:9], s[26:27], v[8:9]
	s_delay_alu instid0(VALU_DEP_1) | instskip(NEXT) | instid1(VALU_DEP_1)
	v_fmac_f64_e32 v[8:9], s[24:25], v[4:5]
	v_and_or_b32 v2, 0x1ff, v9, v8
	v_lshrrev_b32_e32 v8, 8, v9
	v_bfe_u32 v10, v9, 20, 11
	s_delay_alu instid0(VALU_DEP_3) | instskip(NEXT) | instid1(VALU_DEP_2)
	v_cmp_ne_u32_e32 vcc_lo, 0, v2
	v_sub_nc_u32_e32 v11, 0x3f1, v10
	v_add_nc_u32_e32 v10, 0xfffffc10, v10
	v_cndmask_b32_e64 v2, 0, 1, vcc_lo
	s_delay_alu instid0(VALU_DEP_1) | instskip(NEXT) | instid1(VALU_DEP_4)
	v_and_or_b32 v2, 0xffe, v8, v2
	v_med3_i32 v8, v11, 0, 13
	s_delay_alu instid0(VALU_DEP_2) | instskip(NEXT) | instid1(VALU_DEP_1)
	v_or_b32_e32 v11, 0x1000, v2
	v_lshrrev_b32_e32 v12, v8, v11
	s_delay_alu instid0(VALU_DEP_1) | instskip(NEXT) | instid1(VALU_DEP_1)
	v_lshlrev_b32_e32 v8, v8, v12
	v_cmp_ne_u32_e32 vcc_lo, v8, v11
	v_lshl_or_b32 v11, v10, 12, v2
	v_cndmask_b32_e64 v8, 0, 1, vcc_lo
	v_cmp_gt_i32_e32 vcc_lo, 1, v10
	s_delay_alu instid0(VALU_DEP_2) | instskip(NEXT) | instid1(VALU_DEP_1)
	v_or_b32_e32 v8, v12, v8
	v_cndmask_b32_e32 v8, v11, v8, vcc_lo
	s_delay_alu instid0(VALU_DEP_1) | instskip(NEXT) | instid1(VALU_DEP_1)
	v_dual_lshrrev_b32 v8, 2, v8 :: v_dual_bitop2_b32 v11, 7, v8 bitop3:0x40
	v_cmp_lt_i32_e32 vcc_lo, 5, v11
	v_cndmask_b32_e64 v12, 0, 1, vcc_lo
	v_cmp_eq_u32_e32 vcc_lo, 3, v11
	v_cndmask_b32_e64 v11, 0, 1, vcc_lo
	v_cmp_ne_u32_e32 vcc_lo, 0, v2
	s_delay_alu instid0(VALU_DEP_2) | instskip(SKIP_2) | instid1(VALU_DEP_3)
	v_or_b32_e32 v11, v11, v12
	v_cndmask_b32_e32 v2, 0x7c00, v1, vcc_lo
	v_cmp_gt_i32_e32 vcc_lo, 31, v10
	v_add_nc_u32_e32 v8, v8, v11
	s_delay_alu instid0(VALU_DEP_1) | instskip(SKIP_1) | instid1(VALU_DEP_2)
	v_cndmask_b32_e32 v8, 0x7c00, v8, vcc_lo
	v_cmp_eq_u32_e32 vcc_lo, 0x40f, v10
	v_dual_cndmask_b32 v2, v8, v2, vcc_lo :: v_dual_lshrrev_b32 v8, 16, v9
	s_delay_alu instid0(VALU_DEP_1)
	v_and_or_b32 v2, 0x8000, v8, v2
	global_store_b16 v[6:7], v2, off
.LBB44_18:                              ;   in Loop: Header=BB44_3 Depth=1
	s_and_not1_b32 vcc_lo, exec_lo, s0
	s_cbranch_vccnz .LBB44_2
; %bb.19:                               ;   in Loop: Header=BB44_3 Depth=1
	s_wait_xcnt 0x0
	v_and_or_b32 v2, 0x1ff, v5, v4
	v_lshrrev_b32_e32 v4, 8, v5
	v_bfe_u32 v8, v5, 20, 11
	s_delay_alu instid0(VALU_DEP_3) | instskip(NEXT) | instid1(VALU_DEP_2)
	v_cmp_ne_u32_e32 vcc_lo, 0, v2
	v_sub_nc_u32_e32 v9, 0x3f1, v8
	v_add_nc_u32_e32 v8, 0xfffffc10, v8
	v_cndmask_b32_e64 v2, 0, 1, vcc_lo
	s_delay_alu instid0(VALU_DEP_1) | instskip(NEXT) | instid1(VALU_DEP_4)
	v_and_or_b32 v2, 0xffe, v4, v2
	v_med3_i32 v4, v9, 0, 13
	s_delay_alu instid0(VALU_DEP_2) | instskip(NEXT) | instid1(VALU_DEP_1)
	v_or_b32_e32 v9, 0x1000, v2
	v_lshrrev_b32_e32 v10, v4, v9
	s_delay_alu instid0(VALU_DEP_1) | instskip(NEXT) | instid1(VALU_DEP_1)
	v_lshlrev_b32_e32 v4, v4, v10
	v_cmp_ne_u32_e32 vcc_lo, v4, v9
	v_lshl_or_b32 v9, v8, 12, v2
	v_cndmask_b32_e64 v4, 0, 1, vcc_lo
	v_cmp_gt_i32_e32 vcc_lo, 1, v8
	s_delay_alu instid0(VALU_DEP_2) | instskip(NEXT) | instid1(VALU_DEP_1)
	v_or_b32_e32 v4, v10, v4
	v_cndmask_b32_e32 v4, v9, v4, vcc_lo
	s_delay_alu instid0(VALU_DEP_1) | instskip(NEXT) | instid1(VALU_DEP_1)
	v_dual_lshrrev_b32 v4, 2, v4 :: v_dual_bitop2_b32 v9, 7, v4 bitop3:0x40
	v_cmp_lt_i32_e32 vcc_lo, 5, v9
	v_cndmask_b32_e64 v10, 0, 1, vcc_lo
	v_cmp_eq_u32_e32 vcc_lo, 3, v9
	v_cndmask_b32_e64 v9, 0, 1, vcc_lo
	v_cmp_ne_u32_e32 vcc_lo, 0, v2
	s_delay_alu instid0(VALU_DEP_2) | instskip(SKIP_2) | instid1(VALU_DEP_3)
	v_or_b32_e32 v9, v9, v10
	v_cndmask_b32_e32 v2, 0x7c00, v1, vcc_lo
	v_cmp_gt_i32_e32 vcc_lo, 31, v8
	v_add_nc_u32_e32 v4, v4, v9
	s_delay_alu instid0(VALU_DEP_1) | instskip(SKIP_1) | instid1(VALU_DEP_2)
	v_cndmask_b32_e32 v4, 0x7c00, v4, vcc_lo
	v_cmp_eq_u32_e32 vcc_lo, 0x40f, v8
	v_dual_cndmask_b32 v2, v4, v2, vcc_lo :: v_dual_lshrrev_b32 v4, 16, v5
	s_delay_alu instid0(VALU_DEP_1)
	v_and_or_b32 v2, 0x8000, v4, v2
	global_store_b16 v[6:7], v2, off
	s_branch .LBB44_2
.LBB44_20:
	s_endpgm
	.section	.rodata,"a",@progbits
	.p2align	6, 0x0
	.amdhsa_kernel naive_conv_ab_packed_wrw_nhwc_half_double_half
		.amdhsa_group_segment_fixed_size 0
		.amdhsa_private_segment_fixed_size 0
		.amdhsa_kernarg_size 480
		.amdhsa_user_sgpr_count 2
		.amdhsa_user_sgpr_dispatch_ptr 0
		.amdhsa_user_sgpr_queue_ptr 0
		.amdhsa_user_sgpr_kernarg_segment_ptr 1
		.amdhsa_user_sgpr_dispatch_id 0
		.amdhsa_user_sgpr_kernarg_preload_length 0
		.amdhsa_user_sgpr_kernarg_preload_offset 0
		.amdhsa_user_sgpr_private_segment_size 0
		.amdhsa_wavefront_size32 1
		.amdhsa_uses_dynamic_stack 0
		.amdhsa_enable_private_segment 0
		.amdhsa_system_sgpr_workgroup_id_x 1
		.amdhsa_system_sgpr_workgroup_id_y 0
		.amdhsa_system_sgpr_workgroup_id_z 0
		.amdhsa_system_sgpr_workgroup_info 0
		.amdhsa_system_vgpr_workitem_id 0
		.amdhsa_next_free_vgpr 20
		.amdhsa_next_free_sgpr 69
		.amdhsa_named_barrier_count 0
		.amdhsa_reserve_vcc 1
		.amdhsa_float_round_mode_32 0
		.amdhsa_float_round_mode_16_64 0
		.amdhsa_float_denorm_mode_32 3
		.amdhsa_float_denorm_mode_16_64 3
		.amdhsa_fp16_overflow 0
		.amdhsa_memory_ordered 1
		.amdhsa_forward_progress 1
		.amdhsa_inst_pref_size 16
		.amdhsa_round_robin_scheduling 0
		.amdhsa_exception_fp_ieee_invalid_op 0
		.amdhsa_exception_fp_denorm_src 0
		.amdhsa_exception_fp_ieee_div_zero 0
		.amdhsa_exception_fp_ieee_overflow 0
		.amdhsa_exception_fp_ieee_underflow 0
		.amdhsa_exception_fp_ieee_inexact 0
		.amdhsa_exception_int_div_zero 0
	.end_amdhsa_kernel
	.text
.Lfunc_end44:
	.size	naive_conv_ab_packed_wrw_nhwc_half_double_half, .Lfunc_end44-naive_conv_ab_packed_wrw_nhwc_half_double_half
                                        ; -- End function
	.set naive_conv_ab_packed_wrw_nhwc_half_double_half.num_vgpr, 20
	.set naive_conv_ab_packed_wrw_nhwc_half_double_half.num_agpr, 0
	.set naive_conv_ab_packed_wrw_nhwc_half_double_half.numbered_sgpr, 69
	.set naive_conv_ab_packed_wrw_nhwc_half_double_half.num_named_barrier, 0
	.set naive_conv_ab_packed_wrw_nhwc_half_double_half.private_seg_size, 0
	.set naive_conv_ab_packed_wrw_nhwc_half_double_half.uses_vcc, 1
	.set naive_conv_ab_packed_wrw_nhwc_half_double_half.uses_flat_scratch, 0
	.set naive_conv_ab_packed_wrw_nhwc_half_double_half.has_dyn_sized_stack, 0
	.set naive_conv_ab_packed_wrw_nhwc_half_double_half.has_recursion, 0
	.set naive_conv_ab_packed_wrw_nhwc_half_double_half.has_indirect_call, 0
	.section	.AMDGPU.csdata,"",@progbits
; Kernel info:
; codeLenInByte = 2000
; TotalNumSgprs: 71
; NumVgprs: 20
; ScratchSize: 0
; MemoryBound: 0
; FloatMode: 240
; IeeeMode: 1
; LDSByteSize: 0 bytes/workgroup (compile time only)
; SGPRBlocks: 0
; VGPRBlocks: 1
; NumSGPRsForWavesPerEU: 71
; NumVGPRsForWavesPerEU: 20
; NamedBarCnt: 0
; Occupancy: 16
; WaveLimiterHint : 0
; COMPUTE_PGM_RSRC2:SCRATCH_EN: 0
; COMPUTE_PGM_RSRC2:USER_SGPR: 2
; COMPUTE_PGM_RSRC2:TRAP_HANDLER: 0
; COMPUTE_PGM_RSRC2:TGID_X_EN: 1
; COMPUTE_PGM_RSRC2:TGID_Y_EN: 0
; COMPUTE_PGM_RSRC2:TGID_Z_EN: 0
; COMPUTE_PGM_RSRC2:TIDIG_COMP_CNT: 0
	.text
	.protected	naive_conv_ab_nonpacked_wrw_nhwc_half_double_half ; -- Begin function naive_conv_ab_nonpacked_wrw_nhwc_half_double_half
	.globl	naive_conv_ab_nonpacked_wrw_nhwc_half_double_half
	.p2align	8
	.type	naive_conv_ab_nonpacked_wrw_nhwc_half_double_half,@function
naive_conv_ab_nonpacked_wrw_nhwc_half_double_half: ; @naive_conv_ab_nonpacked_wrw_nhwc_half_double_half
; %bb.0:
	s_clause 0x1
	s_load_b256 s[20:27], s[0:1], 0xa0
	s_load_b128 s[52:55], s[0:1], 0xd0
	s_bfe_u32 s2, ttmp6, 0x4000c
	s_and_b32 s3, ttmp6, 15
	s_add_co_i32 s2, s2, 1
	s_getreg_b32 s4, hwreg(HW_REG_IB_STS2, 6, 4)
	s_mul_i32 s2, ttmp9, s2
	s_delay_alu instid0(SALU_CYCLE_1)
	s_add_co_i32 s3, s3, s2
	s_cmp_eq_u32 s4, 0
	s_mov_b32 s4, exec_lo
	s_cselect_b32 s28, ttmp9, s3
	s_mov_b32 s3, 0
	s_wait_kmcnt 0x0
	s_abs_i32 s29, s23
	s_mul_i32 s55, s54, s24
	s_cvt_f32_u32 s2, s29
	s_mul_i32 s33, s55, s53
	s_delay_alu instid0(SALU_CYCLE_2) | instskip(SKIP_1) | instid1(TRANS32_DEP_1)
	v_rcp_iflag_f32_e32 v1, s2
	v_nop
	v_readfirstlane_b32 s2, v1
	v_cmpx_gt_i32_e64 s33, v0
	s_cbranch_execz .LBB45_20
; %bb.1:
	s_mul_f32 s2, s2, 0x4f7ffffe
	s_mov_b32 s31, s3
	s_ashr_i32 s34, s28, 31
	s_ashr_i32 s35, s23, 31
	s_cvt_u32_f32 s4, s2
	s_sub_co_i32 s2, 0, s29
	s_load_b256 s[44:51], s[0:1], 0x68
	s_xor_b32 s34, s34, s35
	s_mul_i32 s5, s2, s4
	s_abs_i32 s2, s28
	s_mul_hi_u32 s5, s4, s5
	s_load_b256 s[36:43], s[0:1], 0x0
	s_add_co_i32 s30, s4, s5
	s_load_b512 s[4:19], s[0:1], 0x28
	s_mul_u64 s[30:31], s[2:3], s[30:31]
	s_load_b64 s[58:59], s[0:1], 0x20
	s_mul_i32 s30, s31, s29
	v_mov_b32_e32 v3, 0
	s_sub_co_i32 s2, s2, s30
	s_add_co_i32 s30, s31, 1
	s_sub_co_i32 s35, s2, s29
	s_cmp_ge_u32 s2, s29
	s_cselect_b32 s30, s30, s31
	s_cselect_b32 s2, s35, s2
	s_add_co_i32 s31, s30, 1
	s_cmp_ge_u32 s2, s29
	s_cselect_b32 s2, s31, s30
	s_delay_alu instid0(SALU_CYCLE_1)
	s_xor_b32 s2, s2, s34
	s_wait_kmcnt 0x0
	v_cmp_neq_f64_e64 s53, s[42:43], 0
	s_sub_co_i32 s30, s2, s34
	v_cmp_neq_f64_e64 s2, s[40:41], 1.0
	s_mul_i32 s23, s30, s23
	s_ashr_i32 s31, s30, 31
	s_sub_co_i32 s28, s28, s23
	s_mul_u64 s[6:7], s[6:7], s[30:31]
	s_mul_u64 s[34:35], s[46:47], s[30:31]
	;; [unrolled: 1-line block ×3, first 2 shown]
	s_ashr_i32 s29, s28, 31
	s_lshl_b64 s[50:51], s[30:31], 1
	s_mul_u64 s[30:31], s[44:45], s[28:29]
	s_mul_u64 s[28:29], s[48:49], s[28:29]
	s_lshl_b64 s[6:7], s[6:7], 1
	s_lshl_b64 s[34:35], s[34:35], 1
	;; [unrolled: 1-line block ×4, first 2 shown]
	s_cmp_lt_i32 s22, 1
	s_add_nc_u64 s[6:7], s[36:37], s[6:7]
	s_cselect_b32 s23, -1, 0
	s_cmp_gt_i32 s25, 0
	s_clause 0x1
	s_load_b32 s65, s[0:1], 0xec
	s_load_b128 s[28:31], s[0:1], 0xc0
	s_cselect_b32 s60, -1, 0
	s_cmp_gt_i32 s26, 0
	s_cselect_b32 s61, -1, 0
	s_abs_i32 s62, s24
	s_abs_i32 s63, s54
	s_cvt_f32_u32 s44, s62
	s_cvt_f32_u32 s36, s63
	s_abs_i32 s64, s55
	s_ashr_i32 s67, s24, 31
	v_rcp_iflag_f32_e32 v1, s44
	s_clause 0x1
	s_load_b64 s[70:71], s[0:1], 0x98
	s_load_b128 s[44:47], s[0:1], 0x88
	s_wait_xcnt 0x0
	s_add_nc_u64 s[0:1], s[38:39], s[34:35]
	s_cvt_f32_u32 s39, s64
	s_add_nc_u64 s[34:35], s[0:1], s[48:49]
	s_or_b32 s66, s2, s53
	s_sub_co_i32 s49, 0, s64
	v_nop
	v_readfirstlane_b32 s38, v1
	v_rcp_iflag_f32_e32 v1, s36
	v_rcp_iflag_f32_e32 v2, s39
	s_add_nc_u64 s[36:37], s[58:59], s[50:51]
	s_wait_kmcnt 0x0
	s_and_b32 s65, s65, 0xffff
	s_mul_f32 s0, s38, 0x4f7ffffe
	s_sub_co_i32 s38, 0, s62
	s_add_nc_u64 s[36:37], s[36:37], s[56:57]
	v_readfirstlane_b32 s1, v1
	s_cvt_u32_f32 s0, s0
	v_readfirstlane_b32 s2, v2
	v_mov_b32_e32 v1, 0x7e00
	s_mov_b32 s39, s3
	s_mul_i32 s38, s38, s0
	s_mul_f32 s1, s1, 0x4f7ffffe
	s_mul_hi_u32 s38, s0, s38
	s_ashr_i32 s68, s55, 31
	s_add_co_i32 s38, s0, s38
	s_cvt_u32_f32 s0, s1
	s_mul_f32 s1, s2, 0x4f7ffffe
	s_sub_co_i32 s2, 0, s63
	s_mov_b32 s51, s3
	s_mul_i32 s2, s2, s0
	s_cvt_u32_f32 s1, s1
	s_mul_hi_u32 s2, s0, s2
	s_lshl_b64 s[54:55], s[70:71], 1
	s_add_co_i32 s48, s0, s2
	s_mul_i32 s0, s49, s1
	s_mov_b32 s49, s3
	s_mul_hi_u32 s0, s1, s0
	s_lshl_b64 s[46:47], s[46:47], 1
	s_add_co_i32 s50, s1, s0
	s_lshl_b64 s[44:45], s[44:45], 1
	s_sub_co_i32 s69, 0, s52
	s_mov_b32 s70, 0
	s_branch .LBB45_3
.LBB45_2:                               ;   in Loop: Header=BB45_3 Depth=1
	v_add_nc_u32_e32 v0, s65, v0
	s_delay_alu instid0(VALU_DEP_1)
	v_cmp_le_i32_e32 vcc_lo, s33, v0
	s_or_b32 s70, vcc_lo, s70
	s_wait_xcnt 0x0
	s_and_not1_b32 exec_lo, exec_lo, s70
	s_cbranch_execz .LBB45_20
.LBB45_3:                               ; =>This Loop Header: Depth=1
                                        ;     Child Loop BB45_8 Depth 2
                                        ;       Child Loop BB45_11 Depth 3
                                        ;         Child Loop BB45_14 Depth 4
	v_sub_nc_u32_e32 v2, 0, v0
	s_mov_b32 s52, -1
	s_delay_alu instid0(VALU_DEP_1) | instskip(NEXT) | instid1(VALU_DEP_1)
	v_dual_ashrrev_i32 v8, 31, v0 :: v_dual_max_i32 v2, v0, v2
	v_mul_u64_e32 v[4:5], s[38:39], v[2:3]
	s_delay_alu instid0(VALU_DEP_1) | instskip(NEXT) | instid1(VALU_DEP_1)
	v_mul_lo_u32 v4, v5, s62
	v_dual_add_nc_u32 v6, 1, v5 :: v_dual_sub_nc_u32 v4, v2, v4
	s_delay_alu instid0(VALU_DEP_1) | instskip(NEXT) | instid1(VALU_DEP_2)
	v_cmp_le_u32_e32 vcc_lo, s62, v4
	v_cndmask_b32_e32 v5, v5, v6, vcc_lo
	v_subrev_nc_u32_e32 v7, s62, v4
	s_delay_alu instid0(VALU_DEP_1) | instskip(NEXT) | instid1(VALU_DEP_1)
	v_dual_add_nc_u32 v6, 1, v5 :: v_dual_cndmask_b32 v4, v4, v7, vcc_lo
	v_cmp_le_u32_e32 vcc_lo, s62, v4
	s_delay_alu instid0(VALU_DEP_2) | instskip(NEXT) | instid1(VALU_DEP_1)
	v_dual_cndmask_b32 v4, v5, v6, vcc_lo :: v_dual_bitop2_b32 v7, s67, v8 bitop3:0x14
	v_xor_b32_e32 v4, v4, v7
	s_delay_alu instid0(VALU_DEP_1) | instskip(NEXT) | instid1(VALU_DEP_1)
	v_dual_sub_nc_u32 v9, v4, v7 :: v_dual_mov_b32 v7, v3
	v_sub_nc_u32_e32 v4, 0, v9
	s_delay_alu instid0(VALU_DEP_1) | instskip(SKIP_1) | instid1(VALU_DEP_2)
	v_max_i32_e32 v6, v9, v4
	v_mul_u64_e32 v[4:5], s[50:51], v[2:3]
	v_mul_u64_e32 v[10:11], s[48:49], v[6:7]
	s_delay_alu instid0(VALU_DEP_2) | instskip(NEXT) | instid1(VALU_DEP_2)
	v_mul_lo_u32 v4, v5, s64
	v_mul_lo_u32 v7, v11, s63
	s_delay_alu instid0(VALU_DEP_2) | instskip(SKIP_1) | instid1(VALU_DEP_3)
	v_sub_nc_u32_e32 v2, v2, v4
	v_mul_lo_u32 v4, v9, s24
	v_sub_nc_u32_e32 v6, v6, v7
	s_delay_alu instid0(VALU_DEP_3) | instskip(SKIP_1) | instid1(VALU_DEP_3)
	v_subrev_nc_u32_e32 v7, s64, v2
	v_cmp_le_u32_e64 s0, s64, v2
	v_subrev_nc_u32_e32 v10, s63, v6
	v_cmp_le_u32_e32 vcc_lo, s63, v6
	s_delay_alu instid0(VALU_DEP_3) | instskip(NEXT) | instid1(VALU_DEP_3)
	v_cndmask_b32_e64 v7, v2, v7, s0
	v_dual_cndmask_b32 v2, v6, v10, vcc_lo :: v_dual_sub_nc_u32 v6, v0, v4
	s_delay_alu instid0(VALU_DEP_2)
	v_cmp_le_u32_e64 s1, s64, v7
	s_and_not1_b32 vcc_lo, exec_lo, s23
	v_cmp_le_u32_e64 s2, s63, v2
	v_ashrrev_i32_e32 v7, 31, v6
	s_cbranch_vccnz .LBB45_5
; %bb.4:                                ;   in Loop: Header=BB45_3 Depth=1
	s_mov_b32 s52, 0
.LBB45_5:                               ;   in Loop: Header=BB45_3 Depth=1
	v_add_nc_u32_e32 v4, 1, v5
	s_and_not1_b32 vcc_lo, exec_lo, s52
	s_delay_alu instid0(VALU_DEP_1) | instskip(SKIP_1) | instid1(VALU_DEP_1)
	v_dual_ashrrev_i32 v9, 31, v9 :: v_dual_cndmask_b32 v4, v5, v4, s0
	v_subrev_nc_u32_e32 v5, s63, v2
	v_dual_cndmask_b32 v2, v2, v5, s2 :: v_dual_add_nc_u32 v10, 1, v4
	s_delay_alu instid0(VALU_DEP_1) | instskip(NEXT) | instid1(VALU_DEP_2)
	v_xor_b32_e32 v2, v2, v9
	v_dual_cndmask_b32 v4, v4, v10, s1 :: v_dual_bitop2_b32 v11, s68, v8 bitop3:0x14
	s_delay_alu instid0(VALU_DEP_1) | instskip(SKIP_1) | instid1(VALU_DEP_2)
	v_dual_sub_nc_u32 v8, v2, v9 :: v_dual_bitop2_b32 v10, v4, v11 bitop3:0x14
	v_mov_b64_e32 v[4:5], 0
	v_sub_nc_u32_e32 v16, v10, v11
	s_cbranch_vccnz .LBB45_16
; %bb.6:                                ;   in Loop: Header=BB45_3 Depth=1
	v_mul_u64_e32 v[10:11], s[4:5], v[6:7]
	s_delay_alu instid0(VALU_DEP_2) | instskip(SKIP_4) | instid1(VALU_DEP_4)
	v_mul_lo_u32 v9, v16, s29
	v_mad_u32 v17, v8, s30, s69
	v_mov_b64_e32 v[4:5], 0
	s_mov_b32 s2, 0
	s_mov_b64 s[52:53], s[36:37]
	v_lshl_add_u64 v[10:11], v[10:11], 1, s[6:7]
	s_branch .LBB45_8
.LBB45_7:                               ;   in Loop: Header=BB45_8 Depth=2
	s_add_co_i32 s2, s2, 1
	s_add_nc_u64 s[52:53], s[52:53], s[54:55]
	s_cmp_eq_u32 s2, s22
	s_cbranch_scc1 .LBB45_16
.LBB45_8:                               ;   Parent Loop BB45_3 Depth=1
                                        ; =>  This Loop Header: Depth=2
                                        ;       Child Loop BB45_11 Depth 3
                                        ;         Child Loop BB45_14 Depth 4
	s_and_not1_b32 vcc_lo, exec_lo, s60
	s_cbranch_vccnz .LBB45_7
; %bb.9:                                ;   in Loop: Header=BB45_8 Depth=2
	s_mul_u64 s[0:1], s[12:13], s[2:3]
	s_mov_b64 s[56:57], s[52:53]
	v_lshl_add_u64 v[12:13], s[0:1], 1, v[10:11]
	s_mov_b32 s1, 0
	s_branch .LBB45_11
.LBB45_10:                              ;   in Loop: Header=BB45_11 Depth=3
	s_add_co_i32 s1, s1, 1
	s_add_nc_u64 s[56:57], s[56:57], s[46:47]
	s_cmp_eq_u32 s1, s25
	s_cbranch_scc1 .LBB45_7
.LBB45_11:                              ;   Parent Loop BB45_3 Depth=1
                                        ;     Parent Loop BB45_8 Depth=2
                                        ; =>    This Loop Header: Depth=3
                                        ;         Child Loop BB45_14 Depth 4
	s_and_not1_b32 vcc_lo, exec_lo, s61
	s_cbranch_vccnz .LBB45_10
; %bb.12:                               ;   in Loop: Header=BB45_11 Depth=3
	s_mul_i32 s0, s1, s27
	s_mov_b64 s[58:59], s[56:57]
	s_sub_co_i32 s0, s0, s31
	s_mov_b32 s72, s26
	v_add_nc_u32_e32 v2, s0, v9
	s_delay_alu instid0(VALU_DEP_1)
	v_mul_u64_e32 v[14:15], s[10:11], v[2:3]
	v_cmp_gt_i32_e32 vcc_lo, 0, v2
	v_cmp_le_i32_e64 s0, s20, v2
	v_mov_b32_e32 v2, v17
	s_or_b32 s71, vcc_lo, s0
	v_lshl_add_u64 v[14:15], v[14:15], 1, v[12:13]
	s_branch .LBB45_14
.LBB45_13:                              ;   in Loop: Header=BB45_14 Depth=4
	s_wait_xcnt 0x0
	s_or_b32 exec_lo, exec_lo, s0
	v_add_nc_u32_e32 v2, s28, v2
	s_add_co_i32 s72, s72, -1
	s_add_nc_u64 s[58:59], s[58:59], s[44:45]
	s_cmp_eq_u32 s72, 0
	s_cbranch_scc1 .LBB45_10
.LBB45_14:                              ;   Parent Loop BB45_3 Depth=1
                                        ;     Parent Loop BB45_8 Depth=2
                                        ;       Parent Loop BB45_11 Depth=3
                                        ; =>      This Inner Loop Header: Depth=4
	s_delay_alu instid0(VALU_DEP_2) | instskip(SKIP_2) | instid1(SALU_CYCLE_1)
	v_cmp_gt_i32_e32 vcc_lo, 0, v2
	v_cmp_le_i32_e64 s0, s21, v2
	s_or_b32 s0, vcc_lo, s0
	s_nor_b32 s73, s71, s0
	s_delay_alu instid0(SALU_CYCLE_1)
	s_and_saveexec_b32 s0, s73
	s_cbranch_execz .LBB45_13
; %bb.15:                               ;   in Loop: Header=BB45_14 Depth=4
	v_mul_u64_e32 v[18:19], s[8:9], v[2:3]
	s_delay_alu instid0(VALU_DEP_1)
	v_lshl_add_u64 v[18:19], v[18:19], 1, v[14:15]
	global_load_u16 v18, v[18:19], off
	global_load_u16 v19, v3, s[58:59]
	s_wait_loadcnt 0x1
	v_cvt_f32_f16_e32 v18, v18
	s_wait_loadcnt 0x0
	v_cvt_f32_f16_e32 v20, v19
	s_delay_alu instid0(VALU_DEP_2) | instskip(NEXT) | instid1(VALU_DEP_2)
	v_cvt_f64_f32_e32 v[18:19], v18
	v_cvt_f64_f32_e32 v[20:21], v20
	s_delay_alu instid0(VALU_DEP_1)
	v_fmac_f64_e32 v[4:5], v[18:19], v[20:21]
	s_branch .LBB45_13
.LBB45_16:                              ;   in Loop: Header=BB45_3 Depth=1
	s_delay_alu instid0(VALU_DEP_3) | instskip(SKIP_2) | instid1(VALU_DEP_1)
	v_ashrrev_i32_e32 v9, 31, v8
	s_and_b32 vcc_lo, exec_lo, s66
	s_mov_b32 s0, -1
	v_mul_u64_e32 v[8:9], s[16:17], v[8:9]
	s_delay_alu instid0(VALU_DEP_1) | instskip(NEXT) | instid1(VALU_DEP_1)
	v_mad_nc_u64_u32 v[8:9], s18, v16, v[8:9]
	v_mad_u32 v2, s19, v16, v9
	v_ashrrev_i32_e32 v9, 31, v16
	s_delay_alu instid0(VALU_DEP_1) | instskip(NEXT) | instid1(VALU_DEP_1)
	v_mad_u32 v9, s18, v9, v2
	v_mad_nc_u64_u32 v[8:9], v6, s14, v[8:9]
	s_delay_alu instid0(VALU_DEP_1) | instskip(NEXT) | instid1(VALU_DEP_1)
	v_mad_u32 v2, v7, s14, v9
	v_mad_u32 v9, v6, s15, v2
	s_delay_alu instid0(VALU_DEP_1)
	v_lshl_add_u64 v[6:7], v[8:9], 1, s[34:35]
	s_cbranch_vccz .LBB45_18
; %bb.17:                               ;   in Loop: Header=BB45_3 Depth=1
	global_load_u16 v2, v[6:7], off
	s_mov_b32 s0, 0
	s_wait_loadcnt 0x0
	v_cvt_f32_f16_e32 v2, v2
	s_delay_alu instid0(VALU_DEP_1) | instskip(NEXT) | instid1(VALU_DEP_1)
	v_cvt_f64_f32_e32 v[8:9], v2
	v_mul_f64_e32 v[8:9], s[42:43], v[8:9]
	s_delay_alu instid0(VALU_DEP_1) | instskip(NEXT) | instid1(VALU_DEP_1)
	v_fmac_f64_e32 v[8:9], s[40:41], v[4:5]
	v_and_or_b32 v2, 0x1ff, v9, v8
	v_lshrrev_b32_e32 v8, 8, v9
	v_bfe_u32 v10, v9, 20, 11
	s_delay_alu instid0(VALU_DEP_3) | instskip(NEXT) | instid1(VALU_DEP_2)
	v_cmp_ne_u32_e32 vcc_lo, 0, v2
	v_sub_nc_u32_e32 v11, 0x3f1, v10
	v_add_nc_u32_e32 v10, 0xfffffc10, v10
	v_cndmask_b32_e64 v2, 0, 1, vcc_lo
	s_delay_alu instid0(VALU_DEP_1) | instskip(NEXT) | instid1(VALU_DEP_4)
	v_and_or_b32 v2, 0xffe, v8, v2
	v_med3_i32 v8, v11, 0, 13
	s_delay_alu instid0(VALU_DEP_2) | instskip(NEXT) | instid1(VALU_DEP_1)
	v_or_b32_e32 v11, 0x1000, v2
	v_lshrrev_b32_e32 v12, v8, v11
	s_delay_alu instid0(VALU_DEP_1) | instskip(NEXT) | instid1(VALU_DEP_1)
	v_lshlrev_b32_e32 v8, v8, v12
	v_cmp_ne_u32_e32 vcc_lo, v8, v11
	v_lshl_or_b32 v11, v10, 12, v2
	v_cndmask_b32_e64 v8, 0, 1, vcc_lo
	v_cmp_gt_i32_e32 vcc_lo, 1, v10
	s_delay_alu instid0(VALU_DEP_2) | instskip(NEXT) | instid1(VALU_DEP_1)
	v_or_b32_e32 v8, v12, v8
	v_cndmask_b32_e32 v8, v11, v8, vcc_lo
	s_delay_alu instid0(VALU_DEP_1) | instskip(NEXT) | instid1(VALU_DEP_1)
	v_dual_lshrrev_b32 v8, 2, v8 :: v_dual_bitop2_b32 v11, 7, v8 bitop3:0x40
	v_cmp_lt_i32_e32 vcc_lo, 5, v11
	v_cndmask_b32_e64 v12, 0, 1, vcc_lo
	v_cmp_eq_u32_e32 vcc_lo, 3, v11
	v_cndmask_b32_e64 v11, 0, 1, vcc_lo
	v_cmp_ne_u32_e32 vcc_lo, 0, v2
	s_delay_alu instid0(VALU_DEP_2) | instskip(SKIP_2) | instid1(VALU_DEP_3)
	v_or_b32_e32 v11, v11, v12
	v_cndmask_b32_e32 v2, 0x7c00, v1, vcc_lo
	v_cmp_gt_i32_e32 vcc_lo, 31, v10
	v_add_nc_u32_e32 v8, v8, v11
	s_delay_alu instid0(VALU_DEP_1) | instskip(SKIP_1) | instid1(VALU_DEP_2)
	v_cndmask_b32_e32 v8, 0x7c00, v8, vcc_lo
	v_cmp_eq_u32_e32 vcc_lo, 0x40f, v10
	v_dual_cndmask_b32 v2, v8, v2, vcc_lo :: v_dual_lshrrev_b32 v8, 16, v9
	s_delay_alu instid0(VALU_DEP_1)
	v_and_or_b32 v2, 0x8000, v8, v2
	global_store_b16 v[6:7], v2, off
.LBB45_18:                              ;   in Loop: Header=BB45_3 Depth=1
	s_and_not1_b32 vcc_lo, exec_lo, s0
	s_cbranch_vccnz .LBB45_2
; %bb.19:                               ;   in Loop: Header=BB45_3 Depth=1
	s_wait_xcnt 0x0
	v_and_or_b32 v2, 0x1ff, v5, v4
	v_lshrrev_b32_e32 v4, 8, v5
	v_bfe_u32 v8, v5, 20, 11
	s_delay_alu instid0(VALU_DEP_3) | instskip(NEXT) | instid1(VALU_DEP_2)
	v_cmp_ne_u32_e32 vcc_lo, 0, v2
	v_sub_nc_u32_e32 v9, 0x3f1, v8
	v_add_nc_u32_e32 v8, 0xfffffc10, v8
	v_cndmask_b32_e64 v2, 0, 1, vcc_lo
	s_delay_alu instid0(VALU_DEP_1) | instskip(NEXT) | instid1(VALU_DEP_4)
	v_and_or_b32 v2, 0xffe, v4, v2
	v_med3_i32 v4, v9, 0, 13
	s_delay_alu instid0(VALU_DEP_2) | instskip(NEXT) | instid1(VALU_DEP_1)
	v_or_b32_e32 v9, 0x1000, v2
	v_lshrrev_b32_e32 v10, v4, v9
	s_delay_alu instid0(VALU_DEP_1) | instskip(NEXT) | instid1(VALU_DEP_1)
	v_lshlrev_b32_e32 v4, v4, v10
	v_cmp_ne_u32_e32 vcc_lo, v4, v9
	v_lshl_or_b32 v9, v8, 12, v2
	v_cndmask_b32_e64 v4, 0, 1, vcc_lo
	v_cmp_gt_i32_e32 vcc_lo, 1, v8
	s_delay_alu instid0(VALU_DEP_2) | instskip(NEXT) | instid1(VALU_DEP_1)
	v_or_b32_e32 v4, v10, v4
	v_cndmask_b32_e32 v4, v9, v4, vcc_lo
	s_delay_alu instid0(VALU_DEP_1) | instskip(NEXT) | instid1(VALU_DEP_1)
	v_dual_lshrrev_b32 v4, 2, v4 :: v_dual_bitop2_b32 v9, 7, v4 bitop3:0x40
	v_cmp_lt_i32_e32 vcc_lo, 5, v9
	v_cndmask_b32_e64 v10, 0, 1, vcc_lo
	v_cmp_eq_u32_e32 vcc_lo, 3, v9
	v_cndmask_b32_e64 v9, 0, 1, vcc_lo
	v_cmp_ne_u32_e32 vcc_lo, 0, v2
	s_delay_alu instid0(VALU_DEP_2) | instskip(SKIP_2) | instid1(VALU_DEP_3)
	v_or_b32_e32 v9, v9, v10
	v_cndmask_b32_e32 v2, 0x7c00, v1, vcc_lo
	v_cmp_gt_i32_e32 vcc_lo, 31, v8
	v_add_nc_u32_e32 v4, v4, v9
	s_delay_alu instid0(VALU_DEP_1) | instskip(SKIP_1) | instid1(VALU_DEP_2)
	v_cndmask_b32_e32 v4, 0x7c00, v4, vcc_lo
	v_cmp_eq_u32_e32 vcc_lo, 0x40f, v8
	v_dual_cndmask_b32 v2, v4, v2, vcc_lo :: v_dual_lshrrev_b32 v4, 16, v5
	s_delay_alu instid0(VALU_DEP_1)
	v_and_or_b32 v2, 0x8000, v4, v2
	global_store_b16 v[6:7], v2, off
	s_branch .LBB45_2
.LBB45_20:
	s_endpgm
	.section	.rodata,"a",@progbits
	.p2align	6, 0x0
	.amdhsa_kernel naive_conv_ab_nonpacked_wrw_nhwc_half_double_half
		.amdhsa_group_segment_fixed_size 0
		.amdhsa_private_segment_fixed_size 0
		.amdhsa_kernarg_size 480
		.amdhsa_user_sgpr_count 2
		.amdhsa_user_sgpr_dispatch_ptr 0
		.amdhsa_user_sgpr_queue_ptr 0
		.amdhsa_user_sgpr_kernarg_segment_ptr 1
		.amdhsa_user_sgpr_dispatch_id 0
		.amdhsa_user_sgpr_kernarg_preload_length 0
		.amdhsa_user_sgpr_kernarg_preload_offset 0
		.amdhsa_user_sgpr_private_segment_size 0
		.amdhsa_wavefront_size32 1
		.amdhsa_uses_dynamic_stack 0
		.amdhsa_enable_private_segment 0
		.amdhsa_system_sgpr_workgroup_id_x 1
		.amdhsa_system_sgpr_workgroup_id_y 0
		.amdhsa_system_sgpr_workgroup_id_z 0
		.amdhsa_system_sgpr_workgroup_info 0
		.amdhsa_system_vgpr_workitem_id 0
		.amdhsa_next_free_vgpr 22
		.amdhsa_next_free_sgpr 74
		.amdhsa_named_barrier_count 0
		.amdhsa_reserve_vcc 1
		.amdhsa_float_round_mode_32 0
		.amdhsa_float_round_mode_16_64 0
		.amdhsa_float_denorm_mode_32 3
		.amdhsa_float_denorm_mode_16_64 3
		.amdhsa_fp16_overflow 0
		.amdhsa_memory_ordered 1
		.amdhsa_forward_progress 1
		.amdhsa_inst_pref_size 16
		.amdhsa_round_robin_scheduling 0
		.amdhsa_exception_fp_ieee_invalid_op 0
		.amdhsa_exception_fp_denorm_src 0
		.amdhsa_exception_fp_ieee_div_zero 0
		.amdhsa_exception_fp_ieee_overflow 0
		.amdhsa_exception_fp_ieee_underflow 0
		.amdhsa_exception_fp_ieee_inexact 0
		.amdhsa_exception_int_div_zero 0
	.end_amdhsa_kernel
	.text
.Lfunc_end45:
	.size	naive_conv_ab_nonpacked_wrw_nhwc_half_double_half, .Lfunc_end45-naive_conv_ab_nonpacked_wrw_nhwc_half_double_half
                                        ; -- End function
	.set naive_conv_ab_nonpacked_wrw_nhwc_half_double_half.num_vgpr, 22
	.set naive_conv_ab_nonpacked_wrw_nhwc_half_double_half.num_agpr, 0
	.set naive_conv_ab_nonpacked_wrw_nhwc_half_double_half.numbered_sgpr, 74
	.set naive_conv_ab_nonpacked_wrw_nhwc_half_double_half.num_named_barrier, 0
	.set naive_conv_ab_nonpacked_wrw_nhwc_half_double_half.private_seg_size, 0
	.set naive_conv_ab_nonpacked_wrw_nhwc_half_double_half.uses_vcc, 1
	.set naive_conv_ab_nonpacked_wrw_nhwc_half_double_half.uses_flat_scratch, 0
	.set naive_conv_ab_nonpacked_wrw_nhwc_half_double_half.has_dyn_sized_stack, 0
	.set naive_conv_ab_nonpacked_wrw_nhwc_half_double_half.has_recursion, 0
	.set naive_conv_ab_nonpacked_wrw_nhwc_half_double_half.has_indirect_call, 0
	.section	.AMDGPU.csdata,"",@progbits
; Kernel info:
; codeLenInByte = 2032
; TotalNumSgprs: 76
; NumVgprs: 22
; ScratchSize: 0
; MemoryBound: 0
; FloatMode: 240
; IeeeMode: 1
; LDSByteSize: 0 bytes/workgroup (compile time only)
; SGPRBlocks: 0
; VGPRBlocks: 1
; NumSGPRsForWavesPerEU: 76
; NumVGPRsForWavesPerEU: 22
; NamedBarCnt: 0
; Occupancy: 16
; WaveLimiterHint : 0
; COMPUTE_PGM_RSRC2:SCRATCH_EN: 0
; COMPUTE_PGM_RSRC2:USER_SGPR: 2
; COMPUTE_PGM_RSRC2:TRAP_HANDLER: 0
; COMPUTE_PGM_RSRC2:TGID_X_EN: 1
; COMPUTE_PGM_RSRC2:TGID_Y_EN: 0
; COMPUTE_PGM_RSRC2:TGID_Z_EN: 0
; COMPUTE_PGM_RSRC2:TIDIG_COMP_CNT: 0
	.text
	.protected	naive_conv_ab_packed_wrw_nhwc_ushort_double_ushort ; -- Begin function naive_conv_ab_packed_wrw_nhwc_ushort_double_ushort
	.globl	naive_conv_ab_packed_wrw_nhwc_ushort_double_ushort
	.p2align	8
	.type	naive_conv_ab_packed_wrw_nhwc_ushort_double_ushort,@function
naive_conv_ab_packed_wrw_nhwc_ushort_double_ushort: ; @naive_conv_ab_packed_wrw_nhwc_ushort_double_ushort
; %bb.0:
	s_load_b512 s[4:19], s[0:1], 0xa0
	s_bfe_u32 s2, ttmp6, 0x4000c
	s_and_b32 s3, ttmp6, 15
	s_add_co_i32 s2, s2, 1
	s_getreg_b32 s20, hwreg(HW_REG_IB_STS2, 6, 4)
	s_mul_i32 s2, ttmp9, s2
	s_delay_alu instid0(SALU_CYCLE_1)
	s_add_co_i32 s3, s3, s2
	s_cmp_eq_u32 s20, 0
	s_mov_b32 s20, exec_lo
	s_cselect_b32 s36, ttmp9, s3
	s_mov_b32 s3, 0
	s_wait_kmcnt 0x0
	s_abs_i32 s29, s7
	s_mul_i32 s44, s18, s8
	s_cvt_f32_u32 s2, s29
	s_mul_i32 s33, s44, s17
	s_delay_alu instid0(SALU_CYCLE_2) | instskip(SKIP_1) | instid1(TRANS32_DEP_1)
	v_rcp_iflag_f32_e32 v1, s2
	v_nop
	v_readfirstlane_b32 s2, v1
	v_cmpx_gt_i32_e64 s33, v0
	s_cbranch_execz .LBB46_20
; %bb.1:
	s_mul_f32 s2, s2, 0x4f7ffffe
	s_mov_b32 s31, s3
	s_ashr_i32 s37, s36, 31
	s_ashr_i32 s39, s7, 31
	s_cvt_u32_f32 s28, s2
	s_sub_co_i32 s2, 0, s29
	s_xor_b32 s37, s37, s39
	s_clause 0x1
	s_load_b256 s[20:27], s[0:1], 0x0
	s_load_b64 s[34:35], s[0:1], 0x20
	s_mul_i32 s30, s2, s28
	s_abs_i32 s2, s36
	s_mul_hi_u32 s30, s28, s30
	s_mov_b32 s38, s7
	s_add_co_i32 s30, s28, s30
	s_mov_b32 s28, s8
	s_mul_u64 s[30:31], s[2:3], s[30:31]
	s_mov_b32 s40, s17
	s_mul_i32 s30, s31, s29
	s_mov_b32 s48, s10
	s_sub_co_i32 s2, s2, s30
	s_add_co_i32 s30, s31, 1
	s_sub_co_i32 s41, s2, s29
	s_cmp_ge_u32 s2, s29
	v_mov_b32_e32 v3, 0
	s_cselect_b32 s31, s30, s31
	s_cselect_b32 s2, s41, s2
	s_add_co_i32 s41, s31, 1
	s_cmp_ge_u32 s2, s29
	s_mov_b32 s30, s18
	s_cselect_b32 s2, s41, s31
	s_ashr_i32 s29, s8, 31
	s_xor_b32 s2, s2, s37
	s_ashr_i32 s41, s17, 31
	s_sub_co_i32 s42, s2, s37
	s_ashr_i32 s31, s18, 31
	s_mul_i32 s2, s42, s7
	s_ashr_i32 s43, s42, 31
	s_sub_co_i32 s36, s36, s2
	s_mul_u64 s[38:39], s[42:43], s[38:39]
	s_mul_u64 s[42:43], s[42:43], s[28:29]
	;; [unrolled: 1-line block ×3, first 2 shown]
	s_ashr_i32 s37, s36, 31
	s_lshl_b64 s[42:43], s[42:43], 1
	s_mul_u64 s[40:41], s[40:41], s[30:31]
	s_add_nc_u64 s[46:47], s[38:39], s[36:37]
	s_wait_kmcnt 0x0
	s_add_nc_u64 s[20:21], s[20:21], s[42:43]
	v_cmp_neq_f64_e64 s17, s[24:25], 1.0
	v_cmp_neq_f64_e64 s42, s[26:27], 0
	s_mul_u64 s[40:41], s[40:41], s[46:47]
	s_lshl_b64 s[38:39], s[38:39], 1
	s_lshl_b64 s[40:41], s[40:41], 1
	s_load_b32 s2, s[0:1], 0xec
	s_wait_xcnt 0x0
	s_add_nc_u64 s[0:1], s[34:35], s[38:39]
	s_lshl_b64 s[34:35], s[36:37], 1
	s_cmp_lt_i32 s6, 1
	s_add_nc_u64 s[34:35], s[0:1], s[34:35]
	s_cselect_b32 s31, -1, 0
	s_cmp_gt_i32 s9, 0
	s_mul_i32 s36, s19, s8
	s_cselect_b32 s58, -1, 0
	s_cmp_gt_i32 s10, 0
	s_mul_i32 s0, s19, s7
	s_cselect_b32 s7, -1, 0
	s_abs_i32 s8, s8
	s_abs_i32 s59, s18
	s_cvt_f32_u32 s1, s8
	s_abs_i32 s60, s44
	s_ashr_i32 s49, s10, 31
	s_cvt_f32_u32 s19, s60
	v_rcp_iflag_f32_e32 v1, s1
	s_cvt_f32_u32 s1, s59
	s_wait_kmcnt 0x0
	s_and_b32 s62, s2, 0xffff
	s_sub_co_i32 s2, 0, s8
	s_ashr_i32 s47, s9, 31
	v_rcp_iflag_f32_e32 v2, s1
	s_ashr_i32 s1, s0, 31
	v_readfirstlane_b32 s18, v1
	v_rcp_iflag_f32_e32 v1, s19
	s_mov_b32 s46, s9
	s_or_b32 s61, s17, s42
	s_mul_u64 s[48:49], s[48:49], s[0:1]
	s_mul_f32 s18, s18, 0x4f7ffffe
	v_readfirstlane_b32 s43, v2
	s_mul_u64 s[46:47], s[48:49], s[46:47]
	v_readfirstlane_b32 s19, v1
	s_cvt_u32_f32 s17, s18
	s_add_nc_u64 s[22:23], s[22:23], s[40:41]
	s_mul_f32 s18, s43, 0x4f7ffffe
	s_ashr_i32 s39, s4, 31
	s_mul_i32 s2, s2, s17
	s_mov_b32 s38, s4
	s_mul_hi_u32 s2, s17, s2
	s_cvt_u32_f32 s42, s18
	s_add_co_i32 s18, s17, s2
	s_sub_co_i32 s2, 0, s59
	s_mul_f32 s17, s19, 0x4f7ffffe
	s_mul_i32 s2, s2, s42
	s_ashr_i32 s41, s5, 31
	s_mul_hi_u32 s2, s42, s2
	s_cvt_u32_f32 s17, s17
	s_add_co_i32 s42, s42, s2
	s_sub_co_i32 s2, 0, s60
	s_mov_b32 s40, s5
	s_mul_i32 s2, s2, s17
	s_ashr_i32 s37, s36, 31
	s_mul_hi_u32 s2, s17, s2
	s_mov_b32 s19, s3
	s_mov_b32 s43, s3
	s_ashr_i32 s63, s44, 31
	s_add_co_i32 s44, s17, s2
	s_mov_b32 s45, s3
	s_lshl_b64 s[46:47], s[46:47], 1
	s_lshl_b64 s[48:49], s[48:49], 1
	;; [unrolled: 1-line block ×3, first 2 shown]
	s_sub_co_i32 s64, 0, s16
	s_mov_b32 s65, 0
	s_branch .LBB46_3
.LBB46_2:                               ;   in Loop: Header=BB46_3 Depth=1
	v_add_nc_u32_e32 v0, s62, v0
	s_delay_alu instid0(VALU_DEP_1)
	v_cmp_le_i32_e32 vcc_lo, s33, v0
	s_or_b32 s65, vcc_lo, s65
	s_wait_xcnt 0x0
	s_and_not1_b32 exec_lo, exec_lo, s65
	s_cbranch_execz .LBB46_20
.LBB46_3:                               ; =>This Loop Header: Depth=1
                                        ;     Child Loop BB46_8 Depth 2
                                        ;       Child Loop BB46_11 Depth 3
                                        ;         Child Loop BB46_14 Depth 4
	v_sub_nc_u32_e32 v1, 0, v0
	s_mov_b32 s16, -1
	s_delay_alu instid0(VALU_DEP_1) | instskip(NEXT) | instid1(VALU_DEP_1)
	v_max_i32_e32 v2, v0, v1
	v_mul_u64_e32 v[4:5], s[18:19], v[2:3]
	s_delay_alu instid0(VALU_DEP_1) | instskip(NEXT) | instid1(VALU_DEP_1)
	v_mul_lo_u32 v1, v5, s8
	v_sub_nc_u32_e32 v4, v2, v1
	v_add_nc_u32_e32 v1, 1, v5
	s_delay_alu instid0(VALU_DEP_2) | instskip(NEXT) | instid1(VALU_DEP_2)
	v_cmp_le_u32_e32 vcc_lo, s8, v4
	v_dual_cndmask_b32 v5, v5, v1, vcc_lo :: v_dual_ashrrev_i32 v1, 31, v0
	v_subrev_nc_u32_e32 v6, s8, v4
	s_delay_alu instid0(VALU_DEP_1) | instskip(NEXT) | instid1(VALU_DEP_1)
	v_dual_cndmask_b32 v4, v4, v6, vcc_lo :: v_dual_add_nc_u32 v6, 1, v5
	v_cmp_le_u32_e32 vcc_lo, s8, v4
	s_delay_alu instid0(VALU_DEP_2) | instskip(NEXT) | instid1(VALU_DEP_1)
	v_dual_cndmask_b32 v4, v5, v6, vcc_lo :: v_dual_bitop2_b32 v7, s29, v1 bitop3:0x14
	v_dual_mov_b32 v5, v3 :: v_dual_bitop2_b32 v4, v4, v7 bitop3:0x14
	s_delay_alu instid0(VALU_DEP_1) | instskip(SKIP_1) | instid1(VALU_DEP_2)
	v_sub_nc_u32_e32 v8, v4, v7
	v_mul_u64_e32 v[6:7], s[44:45], v[2:3]
	v_sub_nc_u32_e32 v4, 0, v8
	s_delay_alu instid0(VALU_DEP_1) | instskip(NEXT) | instid1(VALU_DEP_1)
	v_max_i32_e32 v4, v8, v4
	v_mul_u64_e32 v[10:11], s[42:43], v[4:5]
	s_delay_alu instid0(VALU_DEP_4) | instskip(NEXT) | instid1(VALU_DEP_1)
	v_mul_lo_u32 v5, v7, s60
	v_sub_nc_u32_e32 v2, v2, v5
	v_mul_lo_u32 v5, v8, s28
	s_delay_alu instid0(VALU_DEP_4) | instskip(NEXT) | instid1(VALU_DEP_3)
	v_mul_lo_u32 v6, v11, s59
	v_cmp_le_u32_e64 s0, s60, v2
	s_delay_alu instid0(VALU_DEP_2) | instskip(SKIP_1) | instid1(VALU_DEP_2)
	v_sub_nc_u32_e32 v4, v4, v6
	v_subrev_nc_u32_e32 v6, s60, v2
	v_subrev_nc_u32_e32 v9, s59, v4
	v_cmp_le_u32_e32 vcc_lo, s59, v4
	s_delay_alu instid0(VALU_DEP_2) | instskip(SKIP_1) | instid1(VALU_DEP_2)
	v_dual_cndmask_b32 v6, v2, v6, s0 :: v_dual_cndmask_b32 v2, v4, v9, vcc_lo
	v_sub_nc_u32_e32 v4, v0, v5
	v_cmp_le_u32_e64 s1, s60, v6
	s_and_not1_b32 vcc_lo, exec_lo, s31
	v_ashrrev_i32_e32 v5, 31, v4
	v_cmp_le_u32_e64 s2, s59, v2
	s_cbranch_vccnz .LBB46_5
; %bb.4:                                ;   in Loop: Header=BB46_3 Depth=1
	s_mov_b32 s16, 0
.LBB46_5:                               ;   in Loop: Header=BB46_3 Depth=1
	v_dual_add_nc_u32 v6, 1, v7 :: v_dual_ashrrev_i32 v8, 31, v8
	s_and_not1_b32 vcc_lo, exec_lo, s16
	s_delay_alu instid0(VALU_DEP_1) | instskip(SKIP_1) | instid1(VALU_DEP_1)
	v_dual_cndmask_b32 v6, v7, v6, s0 :: v_dual_bitop2_b32 v1, s63, v1 bitop3:0x14
	v_subrev_nc_u32_e32 v7, s59, v2
	v_dual_cndmask_b32 v2, v2, v7, s2 :: v_dual_add_nc_u32 v9, 1, v6
	s_delay_alu instid0(VALU_DEP_1) | instskip(NEXT) | instid1(VALU_DEP_1)
	v_cndmask_b32_e64 v6, v6, v9, s1
	v_xor_b32_e32 v9, v6, v1
	s_delay_alu instid0(VALU_DEP_3) | instskip(SKIP_1) | instid1(VALU_DEP_2)
	v_xor_b32_e32 v2, v2, v8
	v_mov_b64_e32 v[6:7], 0
	v_dual_sub_nc_u32 v1, v9, v1 :: v_dual_sub_nc_u32 v8, v2, v8
	s_cbranch_vccnz .LBB46_16
; %bb.6:                                ;   in Loop: Header=BB46_3 Depth=1
	s_delay_alu instid0(VALU_DEP_1) | instskip(NEXT) | instid1(VALU_DEP_2)
	v_mul_lo_u32 v9, v1, s13
	v_mad_u32 v14, v8, s14, s64
	v_mov_b64_e32 v[6:7], 0
	v_lshl_add_u64 v[10:11], v[4:5], 1, s[20:21]
	s_mov_b32 s2, 0
	s_mov_b64 s[16:17], s[34:35]
	s_branch .LBB46_8
.LBB46_7:                               ;   in Loop: Header=BB46_8 Depth=2
	s_add_co_i32 s2, s2, 1
	s_add_nc_u64 s[16:17], s[16:17], s[46:47]
	s_cmp_eq_u32 s2, s6
	s_cbranch_scc1 .LBB46_16
.LBB46_8:                               ;   Parent Loop BB46_3 Depth=1
                                        ; =>  This Loop Header: Depth=2
                                        ;       Child Loop BB46_11 Depth 3
                                        ;         Child Loop BB46_14 Depth 4
	s_and_not1_b32 vcc_lo, exec_lo, s58
	s_cbranch_vccnz .LBB46_7
; %bb.9:                                ;   in Loop: Header=BB46_8 Depth=2
	s_mul_u64 s[52:53], s[2:3], s[38:39]
	s_mov_b32 s1, 0
	s_mov_b64 s[54:55], s[16:17]
	s_branch .LBB46_11
.LBB46_10:                              ;   in Loop: Header=BB46_11 Depth=3
	s_add_co_i32 s1, s1, 1
	s_add_nc_u64 s[54:55], s[54:55], s[48:49]
	s_cmp_eq_u32 s1, s9
	s_cbranch_scc1 .LBB46_7
.LBB46_11:                              ;   Parent Loop BB46_3 Depth=1
                                        ;     Parent Loop BB46_8 Depth=2
                                        ; =>    This Loop Header: Depth=3
                                        ;         Child Loop BB46_14 Depth 4
	s_and_not1_b32 vcc_lo, exec_lo, s7
	s_cbranch_vccnz .LBB46_10
; %bb.12:                               ;   in Loop: Header=BB46_11 Depth=3
	s_mul_i32 s0, s1, s11
	s_mov_b64 s[56:57], s[54:55]
	s_sub_co_i32 s0, s0, s15
	s_mov_b32 s67, s10
	v_add_nc_u32_e32 v2, s0, v9
	s_delay_alu instid0(VALU_DEP_1)
	v_add_nc_u64_e32 v[12:13], s[52:53], v[2:3]
	v_cmp_gt_i32_e32 vcc_lo, 0, v2
	v_cmp_le_i32_e64 s0, s4, v2
	v_mov_b32_e32 v2, v14
	s_or_b32 s66, vcc_lo, s0
	v_mul_u64_e32 v[12:13], s[40:41], v[12:13]
	s_branch .LBB46_14
.LBB46_13:                              ;   in Loop: Header=BB46_14 Depth=4
	s_or_b32 exec_lo, exec_lo, s0
	v_add_nc_u32_e32 v2, s12, v2
	s_add_co_i32 s67, s67, -1
	s_add_nc_u64 s[56:57], s[56:57], s[50:51]
	s_cmp_eq_u32 s67, 0
	s_cbranch_scc1 .LBB46_10
.LBB46_14:                              ;   Parent Loop BB46_3 Depth=1
                                        ;     Parent Loop BB46_8 Depth=2
                                        ;       Parent Loop BB46_11 Depth=3
                                        ; =>      This Inner Loop Header: Depth=4
	s_delay_alu instid0(VALU_DEP_2) | instskip(SKIP_2) | instid1(SALU_CYCLE_1)
	v_cmp_gt_i32_e32 vcc_lo, 0, v2
	v_cmp_le_i32_e64 s0, s5, v2
	s_or_b32 s0, vcc_lo, s0
	s_nor_b32 s68, s66, s0
	s_delay_alu instid0(SALU_CYCLE_1)
	s_and_saveexec_b32 s0, s68
	s_cbranch_execz .LBB46_13
; %bb.15:                               ;   in Loop: Header=BB46_14 Depth=4
	v_add_nc_u64_e32 v[16:17], v[12:13], v[2:3]
	s_load_u16 s68, s[56:57], 0x0
	s_delay_alu instid0(VALU_DEP_1) | instskip(SKIP_2) | instid1(VALU_DEP_1)
	v_mul_u64_e32 v[16:17], s[36:37], v[16:17]
	s_wait_kmcnt 0x0
	s_lshl_b32 s68, s68, 16
	v_lshl_add_u64 v[16:17], v[16:17], 1, v[10:11]
	global_load_u16 v15, v[16:17], off
	s_wait_xcnt 0x0
	v_cvt_f64_f32_e32 v[16:17], s68
	s_wait_loadcnt 0x0
	v_lshlrev_b32_e32 v15, 16, v15
	s_delay_alu instid0(VALU_DEP_1) | instskip(NEXT) | instid1(VALU_DEP_1)
	v_cvt_f64_f32_e32 v[18:19], v15
	v_fmac_f64_e32 v[6:7], v[18:19], v[16:17]
	s_branch .LBB46_13
.LBB46_16:                              ;   in Loop: Header=BB46_3 Depth=1
	s_delay_alu instid0(VALU_DEP_1) | instskip(SKIP_2) | instid1(VALU_DEP_1)
	v_ashrrev_i32_e32 v9, 31, v8
	s_and_b32 vcc_lo, exec_lo, s61
	s_mov_b32 s0, -1
	v_mad_nc_i64_i32 v[8:9], v1, s30, v[8:9]
	s_delay_alu instid0(VALU_DEP_1) | instskip(NEXT) | instid1(VALU_DEP_1)
	v_mad_nc_u64_u32 v[4:5], v8, s28, v[4:5]
	v_mad_u32 v1, v9, s28, v5
	s_delay_alu instid0(VALU_DEP_1) | instskip(NEXT) | instid1(VALU_DEP_1)
	v_mad_u32 v5, v8, s29, v1
	v_lshl_add_u64 v[4:5], v[4:5], 1, s[22:23]
	s_cbranch_vccz .LBB46_18
; %bb.17:                               ;   in Loop: Header=BB46_3 Depth=1
	global_load_u16 v1, v[4:5], off
	s_wait_loadcnt 0x0
	v_lshlrev_b32_e32 v1, 16, v1
	s_delay_alu instid0(VALU_DEP_1) | instskip(NEXT) | instid1(VALU_DEP_1)
	v_cvt_f64_f32_e32 v[8:9], v1
	v_mul_f64_e32 v[8:9], s[26:27], v[8:9]
	s_delay_alu instid0(VALU_DEP_1) | instskip(NEXT) | instid1(VALU_DEP_1)
	v_fmac_f64_e32 v[8:9], s[24:25], v[6:7]
	v_cvt_f32_f64_e32 v1, v[8:9]
	s_delay_alu instid0(VALU_DEP_1) | instskip(SKIP_2) | instid1(VALU_DEP_3)
	v_and_b32_e32 v2, 0x7f800000, v1
	v_and_b32_e32 v8, 0xffff, v1
	v_lshrrev_b32_e32 v1, 16, v1
	v_cmp_eq_u32_e32 vcc_lo, 0x7f800000, v2
	s_delay_alu instid0(VALU_DEP_3) | instskip(SKIP_1) | instid1(SALU_CYCLE_1)
	v_cmp_ne_u32_e64 s0, 0, v8
	s_and_b32 s0, vcc_lo, s0
	v_cndmask_b32_e64 v2, 0, 1, s0
	s_mov_b32 s0, 0
	s_delay_alu instid0(VALU_DEP_1)
	v_or_b32_e32 v1, v1, v2
	global_store_b16 v[4:5], v1, off
.LBB46_18:                              ;   in Loop: Header=BB46_3 Depth=1
	s_and_not1_b32 vcc_lo, exec_lo, s0
	s_cbranch_vccnz .LBB46_2
; %bb.19:                               ;   in Loop: Header=BB46_3 Depth=1
	s_wait_xcnt 0x0
	v_cvt_f32_f64_e32 v1, v[6:7]
	s_delay_alu instid0(VALU_DEP_1) | instskip(SKIP_2) | instid1(VALU_DEP_3)
	v_and_b32_e32 v2, 0x7f800000, v1
	v_and_b32_e32 v6, 0xffff, v1
	v_lshrrev_b32_e32 v1, 16, v1
	v_cmp_eq_u32_e32 vcc_lo, 0x7f800000, v2
	s_delay_alu instid0(VALU_DEP_3) | instskip(SKIP_1) | instid1(SALU_CYCLE_1)
	v_cmp_ne_u32_e64 s0, 0, v6
	s_and_b32 s0, vcc_lo, s0
	v_cndmask_b32_e64 v2, 0, 1, s0
	s_delay_alu instid0(VALU_DEP_1)
	v_or_b32_e32 v1, v1, v2
	global_store_b16 v[4:5], v1, off
	s_branch .LBB46_2
.LBB46_20:
	s_endpgm
	.section	.rodata,"a",@progbits
	.p2align	6, 0x0
	.amdhsa_kernel naive_conv_ab_packed_wrw_nhwc_ushort_double_ushort
		.amdhsa_group_segment_fixed_size 0
		.amdhsa_private_segment_fixed_size 0
		.amdhsa_kernarg_size 480
		.amdhsa_user_sgpr_count 2
		.amdhsa_user_sgpr_dispatch_ptr 0
		.amdhsa_user_sgpr_queue_ptr 0
		.amdhsa_user_sgpr_kernarg_segment_ptr 1
		.amdhsa_user_sgpr_dispatch_id 0
		.amdhsa_user_sgpr_kernarg_preload_length 0
		.amdhsa_user_sgpr_kernarg_preload_offset 0
		.amdhsa_user_sgpr_private_segment_size 0
		.amdhsa_wavefront_size32 1
		.amdhsa_uses_dynamic_stack 0
		.amdhsa_enable_private_segment 0
		.amdhsa_system_sgpr_workgroup_id_x 1
		.amdhsa_system_sgpr_workgroup_id_y 0
		.amdhsa_system_sgpr_workgroup_id_z 0
		.amdhsa_system_sgpr_workgroup_info 0
		.amdhsa_system_vgpr_workitem_id 0
		.amdhsa_next_free_vgpr 20
		.amdhsa_next_free_sgpr 69
		.amdhsa_named_barrier_count 0
		.amdhsa_reserve_vcc 1
		.amdhsa_float_round_mode_32 0
		.amdhsa_float_round_mode_16_64 0
		.amdhsa_float_denorm_mode_32 3
		.amdhsa_float_denorm_mode_16_64 3
		.amdhsa_fp16_overflow 0
		.amdhsa_memory_ordered 1
		.amdhsa_forward_progress 1
		.amdhsa_inst_pref_size 13
		.amdhsa_round_robin_scheduling 0
		.amdhsa_exception_fp_ieee_invalid_op 0
		.amdhsa_exception_fp_denorm_src 0
		.amdhsa_exception_fp_ieee_div_zero 0
		.amdhsa_exception_fp_ieee_overflow 0
		.amdhsa_exception_fp_ieee_underflow 0
		.amdhsa_exception_fp_ieee_inexact 0
		.amdhsa_exception_int_div_zero 0
	.end_amdhsa_kernel
	.text
.Lfunc_end46:
	.size	naive_conv_ab_packed_wrw_nhwc_ushort_double_ushort, .Lfunc_end46-naive_conv_ab_packed_wrw_nhwc_ushort_double_ushort
                                        ; -- End function
	.set naive_conv_ab_packed_wrw_nhwc_ushort_double_ushort.num_vgpr, 20
	.set naive_conv_ab_packed_wrw_nhwc_ushort_double_ushort.num_agpr, 0
	.set naive_conv_ab_packed_wrw_nhwc_ushort_double_ushort.numbered_sgpr, 69
	.set naive_conv_ab_packed_wrw_nhwc_ushort_double_ushort.num_named_barrier, 0
	.set naive_conv_ab_packed_wrw_nhwc_ushort_double_ushort.private_seg_size, 0
	.set naive_conv_ab_packed_wrw_nhwc_ushort_double_ushort.uses_vcc, 1
	.set naive_conv_ab_packed_wrw_nhwc_ushort_double_ushort.uses_flat_scratch, 0
	.set naive_conv_ab_packed_wrw_nhwc_ushort_double_ushort.has_dyn_sized_stack, 0
	.set naive_conv_ab_packed_wrw_nhwc_ushort_double_ushort.has_recursion, 0
	.set naive_conv_ab_packed_wrw_nhwc_ushort_double_ushort.has_indirect_call, 0
	.section	.AMDGPU.csdata,"",@progbits
; Kernel info:
; codeLenInByte = 1600
; TotalNumSgprs: 71
; NumVgprs: 20
; ScratchSize: 0
; MemoryBound: 0
; FloatMode: 240
; IeeeMode: 1
; LDSByteSize: 0 bytes/workgroup (compile time only)
; SGPRBlocks: 0
; VGPRBlocks: 1
; NumSGPRsForWavesPerEU: 71
; NumVGPRsForWavesPerEU: 20
; NamedBarCnt: 0
; Occupancy: 16
; WaveLimiterHint : 0
; COMPUTE_PGM_RSRC2:SCRATCH_EN: 0
; COMPUTE_PGM_RSRC2:USER_SGPR: 2
; COMPUTE_PGM_RSRC2:TRAP_HANDLER: 0
; COMPUTE_PGM_RSRC2:TGID_X_EN: 1
; COMPUTE_PGM_RSRC2:TGID_Y_EN: 0
; COMPUTE_PGM_RSRC2:TGID_Z_EN: 0
; COMPUTE_PGM_RSRC2:TIDIG_COMP_CNT: 0
	.text
	.protected	naive_conv_ab_nonpacked_wrw_nhwc_ushort_double_ushort ; -- Begin function naive_conv_ab_nonpacked_wrw_nhwc_ushort_double_ushort
	.globl	naive_conv_ab_nonpacked_wrw_nhwc_ushort_double_ushort
	.p2align	8
	.type	naive_conv_ab_nonpacked_wrw_nhwc_ushort_double_ushort,@function
naive_conv_ab_nonpacked_wrw_nhwc_ushort_double_ushort: ; @naive_conv_ab_nonpacked_wrw_nhwc_ushort_double_ushort
; %bb.0:
	s_clause 0x1
	s_load_b256 s[20:27], s[0:1], 0xa0
	s_load_b128 s[52:55], s[0:1], 0xd0
	s_bfe_u32 s2, ttmp6, 0x4000c
	s_and_b32 s3, ttmp6, 15
	s_add_co_i32 s2, s2, 1
	s_getreg_b32 s4, hwreg(HW_REG_IB_STS2, 6, 4)
	s_mul_i32 s2, ttmp9, s2
	s_delay_alu instid0(SALU_CYCLE_1)
	s_add_co_i32 s3, s3, s2
	s_cmp_eq_u32 s4, 0
	s_mov_b32 s4, exec_lo
	s_cselect_b32 s28, ttmp9, s3
	s_mov_b32 s3, 0
	s_wait_kmcnt 0x0
	s_abs_i32 s29, s23
	s_mul_i32 s55, s54, s24
	s_cvt_f32_u32 s2, s29
	s_mul_i32 s33, s55, s53
	s_delay_alu instid0(SALU_CYCLE_2) | instskip(SKIP_1) | instid1(TRANS32_DEP_1)
	v_rcp_iflag_f32_e32 v1, s2
	v_nop
	v_readfirstlane_b32 s2, v1
	v_cmpx_gt_i32_e64 s33, v0
	s_cbranch_execz .LBB47_20
; %bb.1:
	s_mul_f32 s2, s2, 0x4f7ffffe
	s_mov_b32 s31, s3
	s_ashr_i32 s34, s28, 31
	s_ashr_i32 s35, s23, 31
	s_cvt_u32_f32 s4, s2
	s_sub_co_i32 s2, 0, s29
	s_load_b256 s[44:51], s[0:1], 0x68
	s_xor_b32 s34, s34, s35
	s_mul_i32 s5, s2, s4
	s_abs_i32 s2, s28
	s_mul_hi_u32 s5, s4, s5
	s_load_b256 s[36:43], s[0:1], 0x0
	s_add_co_i32 s30, s4, s5
	s_load_b512 s[4:19], s[0:1], 0x28
	s_mul_u64 s[30:31], s[2:3], s[30:31]
	s_load_b64 s[58:59], s[0:1], 0x20
	s_mul_i32 s30, s31, s29
	v_mov_b32_e32 v3, 0
	s_sub_co_i32 s2, s2, s30
	s_add_co_i32 s30, s31, 1
	s_sub_co_i32 s35, s2, s29
	s_cmp_ge_u32 s2, s29
	s_cselect_b32 s30, s30, s31
	s_cselect_b32 s2, s35, s2
	s_add_co_i32 s31, s30, 1
	s_cmp_ge_u32 s2, s29
	s_cselect_b32 s2, s31, s30
	s_delay_alu instid0(SALU_CYCLE_1)
	s_xor_b32 s2, s2, s34
	s_wait_kmcnt 0x0
	v_cmp_neq_f64_e64 s53, s[42:43], 0
	s_sub_co_i32 s30, s2, s34
	v_cmp_neq_f64_e64 s2, s[40:41], 1.0
	s_mul_i32 s23, s30, s23
	s_ashr_i32 s31, s30, 31
	s_sub_co_i32 s28, s28, s23
	s_mul_u64 s[6:7], s[6:7], s[30:31]
	s_mul_u64 s[34:35], s[46:47], s[30:31]
	;; [unrolled: 1-line block ×3, first 2 shown]
	s_ashr_i32 s29, s28, 31
	s_lshl_b64 s[50:51], s[30:31], 1
	s_mul_u64 s[30:31], s[44:45], s[28:29]
	s_mul_u64 s[28:29], s[48:49], s[28:29]
	s_lshl_b64 s[6:7], s[6:7], 1
	s_lshl_b64 s[34:35], s[34:35], 1
	;; [unrolled: 1-line block ×4, first 2 shown]
	s_cmp_lt_i32 s22, 1
	s_add_nc_u64 s[6:7], s[36:37], s[6:7]
	s_cselect_b32 s23, -1, 0
	s_cmp_gt_i32 s25, 0
	s_clause 0x1
	s_load_b32 s65, s[0:1], 0xec
	s_load_b128 s[28:31], s[0:1], 0xc0
	s_cselect_b32 s60, -1, 0
	s_cmp_gt_i32 s26, 0
	s_cselect_b32 s61, -1, 0
	s_abs_i32 s62, s24
	s_abs_i32 s63, s54
	s_cvt_f32_u32 s44, s62
	s_cvt_f32_u32 s36, s63
	s_abs_i32 s64, s55
	s_ashr_i32 s67, s24, 31
	v_rcp_iflag_f32_e32 v1, s44
	s_clause 0x1
	s_load_b64 s[70:71], s[0:1], 0x98
	s_load_b128 s[44:47], s[0:1], 0x88
	s_wait_xcnt 0x0
	s_add_nc_u64 s[0:1], s[38:39], s[34:35]
	s_cvt_f32_u32 s39, s64
	s_add_nc_u64 s[34:35], s[0:1], s[48:49]
	s_or_b32 s66, s2, s53
	s_sub_co_i32 s49, 0, s64
	v_nop
	v_readfirstlane_b32 s38, v1
	v_rcp_iflag_f32_e32 v1, s36
	v_rcp_iflag_f32_e32 v2, s39
	s_add_nc_u64 s[36:37], s[58:59], s[50:51]
	s_wait_kmcnt 0x0
	s_and_b32 s65, s65, 0xffff
	s_mul_f32 s0, s38, 0x4f7ffffe
	s_sub_co_i32 s38, 0, s62
	s_add_nc_u64 s[36:37], s[36:37], s[56:57]
	v_readfirstlane_b32 s1, v1
	s_cvt_u32_f32 s0, s0
	v_readfirstlane_b32 s2, v2
	s_mov_b32 s39, s3
	s_ashr_i32 s68, s55, 31
	s_mul_i32 s38, s38, s0
	s_mul_f32 s1, s1, 0x4f7ffffe
	s_mul_hi_u32 s38, s0, s38
	s_mov_b32 s51, s3
	s_add_co_i32 s38, s0, s38
	s_cvt_u32_f32 s0, s1
	s_mul_f32 s1, s2, 0x4f7ffffe
	s_sub_co_i32 s2, 0, s63
	s_lshl_b64 s[54:55], s[70:71], 1
	s_mul_i32 s2, s2, s0
	s_cvt_u32_f32 s1, s1
	s_mul_hi_u32 s2, s0, s2
	s_lshl_b64 s[46:47], s[46:47], 1
	s_add_co_i32 s48, s0, s2
	s_mul_i32 s0, s49, s1
	s_mov_b32 s49, s3
	s_mul_hi_u32 s0, s1, s0
	s_lshl_b64 s[44:45], s[44:45], 1
	s_add_co_i32 s50, s1, s0
	s_sub_co_i32 s69, 0, s52
	s_mov_b32 s70, 0
	s_branch .LBB47_3
.LBB47_2:                               ;   in Loop: Header=BB47_3 Depth=1
	v_add_nc_u32_e32 v0, s65, v0
	s_delay_alu instid0(VALU_DEP_1)
	v_cmp_le_i32_e32 vcc_lo, s33, v0
	s_or_b32 s70, vcc_lo, s70
	s_wait_xcnt 0x0
	s_and_not1_b32 exec_lo, exec_lo, s70
	s_cbranch_execz .LBB47_20
.LBB47_3:                               ; =>This Loop Header: Depth=1
                                        ;     Child Loop BB47_8 Depth 2
                                        ;       Child Loop BB47_11 Depth 3
                                        ;         Child Loop BB47_14 Depth 4
	v_sub_nc_u32_e32 v1, 0, v0
	s_mov_b32 s52, -1
	s_delay_alu instid0(VALU_DEP_1) | instskip(NEXT) | instid1(VALU_DEP_1)
	v_max_i32_e32 v2, v0, v1
	v_mul_u64_e32 v[4:5], s[38:39], v[2:3]
	s_delay_alu instid0(VALU_DEP_1) | instskip(NEXT) | instid1(VALU_DEP_1)
	v_mul_lo_u32 v1, v5, s62
	v_sub_nc_u32_e32 v4, v2, v1
	v_add_nc_u32_e32 v1, 1, v5
	s_delay_alu instid0(VALU_DEP_2) | instskip(NEXT) | instid1(VALU_DEP_2)
	v_cmp_le_u32_e32 vcc_lo, s62, v4
	v_dual_cndmask_b32 v5, v5, v1, vcc_lo :: v_dual_ashrrev_i32 v1, 31, v0
	v_subrev_nc_u32_e32 v6, s62, v4
	s_delay_alu instid0(VALU_DEP_1) | instskip(NEXT) | instid1(VALU_DEP_1)
	v_dual_cndmask_b32 v4, v4, v6, vcc_lo :: v_dual_add_nc_u32 v6, 1, v5
	v_cmp_le_u32_e32 vcc_lo, s62, v4
	s_delay_alu instid0(VALU_DEP_2) | instskip(NEXT) | instid1(VALU_DEP_1)
	v_dual_cndmask_b32 v4, v5, v6, vcc_lo :: v_dual_bitop2_b32 v7, s67, v1 bitop3:0x14
	v_dual_mov_b32 v5, v3 :: v_dual_bitop2_b32 v4, v4, v7 bitop3:0x14
	s_delay_alu instid0(VALU_DEP_1) | instskip(SKIP_1) | instid1(VALU_DEP_2)
	v_sub_nc_u32_e32 v8, v4, v7
	v_mul_u64_e32 v[6:7], s[50:51], v[2:3]
	v_sub_nc_u32_e32 v4, 0, v8
	s_delay_alu instid0(VALU_DEP_1) | instskip(NEXT) | instid1(VALU_DEP_1)
	v_max_i32_e32 v4, v8, v4
	v_mul_u64_e32 v[10:11], s[48:49], v[4:5]
	s_delay_alu instid0(VALU_DEP_4) | instskip(NEXT) | instid1(VALU_DEP_1)
	v_mul_lo_u32 v5, v7, s64
	v_sub_nc_u32_e32 v2, v2, v5
	v_mul_lo_u32 v5, v8, s24
	s_delay_alu instid0(VALU_DEP_4) | instskip(NEXT) | instid1(VALU_DEP_3)
	v_mul_lo_u32 v6, v11, s63
	v_cmp_le_u32_e64 s0, s64, v2
	s_delay_alu instid0(VALU_DEP_2) | instskip(SKIP_1) | instid1(VALU_DEP_2)
	v_sub_nc_u32_e32 v4, v4, v6
	v_subrev_nc_u32_e32 v6, s64, v2
	v_subrev_nc_u32_e32 v9, s63, v4
	v_cmp_le_u32_e32 vcc_lo, s63, v4
	s_delay_alu instid0(VALU_DEP_2) | instskip(SKIP_1) | instid1(VALU_DEP_2)
	v_dual_cndmask_b32 v6, v2, v6, s0 :: v_dual_cndmask_b32 v2, v4, v9, vcc_lo
	v_sub_nc_u32_e32 v4, v0, v5
	v_cmp_le_u32_e64 s1, s64, v6
	s_and_not1_b32 vcc_lo, exec_lo, s23
	v_ashrrev_i32_e32 v5, 31, v4
	v_cmp_le_u32_e64 s2, s63, v2
	s_cbranch_vccnz .LBB47_5
; %bb.4:                                ;   in Loop: Header=BB47_3 Depth=1
	s_mov_b32 s52, 0
.LBB47_5:                               ;   in Loop: Header=BB47_3 Depth=1
	v_dual_add_nc_u32 v6, 1, v7 :: v_dual_ashrrev_i32 v8, 31, v8
	s_and_not1_b32 vcc_lo, exec_lo, s52
	s_delay_alu instid0(VALU_DEP_1) | instskip(SKIP_1) | instid1(VALU_DEP_1)
	v_dual_cndmask_b32 v6, v7, v6, s0 :: v_dual_bitop2_b32 v1, s68, v1 bitop3:0x14
	v_subrev_nc_u32_e32 v7, s63, v2
	v_dual_cndmask_b32 v2, v2, v7, s2 :: v_dual_add_nc_u32 v9, 1, v6
	s_delay_alu instid0(VALU_DEP_1) | instskip(NEXT) | instid1(VALU_DEP_1)
	v_cndmask_b32_e64 v6, v6, v9, s1
	v_xor_b32_e32 v9, v6, v1
	s_delay_alu instid0(VALU_DEP_3) | instskip(SKIP_1) | instid1(VALU_DEP_2)
	v_xor_b32_e32 v2, v2, v8
	v_mov_b64_e32 v[6:7], 0
	v_dual_sub_nc_u32 v1, v9, v1 :: v_dual_sub_nc_u32 v8, v2, v8
	s_cbranch_vccnz .LBB47_16
; %bb.6:                                ;   in Loop: Header=BB47_3 Depth=1
	v_mul_u64_e32 v[10:11], s[4:5], v[4:5]
	s_delay_alu instid0(VALU_DEP_2) | instskip(NEXT) | instid1(VALU_DEP_3)
	v_mul_lo_u32 v9, v1, s29
	v_mad_u32 v16, v8, s30, s69
	v_mov_b64_e32 v[6:7], 0
	s_mov_b32 s2, 0
	s_mov_b64 s[52:53], s[36:37]
	s_delay_alu instid0(VALU_DEP_4)
	v_lshl_add_u64 v[10:11], v[10:11], 1, s[6:7]
	s_branch .LBB47_8
.LBB47_7:                               ;   in Loop: Header=BB47_8 Depth=2
	s_add_co_i32 s2, s2, 1
	s_add_nc_u64 s[52:53], s[52:53], s[54:55]
	s_cmp_eq_u32 s2, s22
	s_cbranch_scc1 .LBB47_16
.LBB47_8:                               ;   Parent Loop BB47_3 Depth=1
                                        ; =>  This Loop Header: Depth=2
                                        ;       Child Loop BB47_11 Depth 3
                                        ;         Child Loop BB47_14 Depth 4
	s_and_not1_b32 vcc_lo, exec_lo, s60
	s_cbranch_vccnz .LBB47_7
; %bb.9:                                ;   in Loop: Header=BB47_8 Depth=2
	s_mul_u64 s[0:1], s[12:13], s[2:3]
	s_mov_b64 s[56:57], s[52:53]
	v_lshl_add_u64 v[12:13], s[0:1], 1, v[10:11]
	s_mov_b32 s1, 0
	s_branch .LBB47_11
.LBB47_10:                              ;   in Loop: Header=BB47_11 Depth=3
	s_add_co_i32 s1, s1, 1
	s_add_nc_u64 s[56:57], s[56:57], s[46:47]
	s_cmp_eq_u32 s1, s25
	s_cbranch_scc1 .LBB47_7
.LBB47_11:                              ;   Parent Loop BB47_3 Depth=1
                                        ;     Parent Loop BB47_8 Depth=2
                                        ; =>    This Loop Header: Depth=3
                                        ;         Child Loop BB47_14 Depth 4
	s_and_not1_b32 vcc_lo, exec_lo, s61
	s_cbranch_vccnz .LBB47_10
; %bb.12:                               ;   in Loop: Header=BB47_11 Depth=3
	s_mul_i32 s0, s1, s27
	s_mov_b64 s[58:59], s[56:57]
	s_sub_co_i32 s0, s0, s31
	s_mov_b32 s72, s26
	v_add_nc_u32_e32 v2, s0, v9
	s_delay_alu instid0(VALU_DEP_1)
	v_mul_u64_e32 v[14:15], s[10:11], v[2:3]
	v_cmp_gt_i32_e32 vcc_lo, 0, v2
	v_cmp_le_i32_e64 s0, s20, v2
	v_mov_b32_e32 v2, v16
	s_or_b32 s71, vcc_lo, s0
	v_lshl_add_u64 v[14:15], v[14:15], 1, v[12:13]
	s_branch .LBB47_14
.LBB47_13:                              ;   in Loop: Header=BB47_14 Depth=4
	s_or_b32 exec_lo, exec_lo, s0
	v_add_nc_u32_e32 v2, s28, v2
	s_add_co_i32 s72, s72, -1
	s_add_nc_u64 s[58:59], s[58:59], s[44:45]
	s_cmp_eq_u32 s72, 0
	s_cbranch_scc1 .LBB47_10
.LBB47_14:                              ;   Parent Loop BB47_3 Depth=1
                                        ;     Parent Loop BB47_8 Depth=2
                                        ;       Parent Loop BB47_11 Depth=3
                                        ; =>      This Inner Loop Header: Depth=4
	s_delay_alu instid0(VALU_DEP_2) | instskip(SKIP_2) | instid1(SALU_CYCLE_1)
	v_cmp_gt_i32_e32 vcc_lo, 0, v2
	v_cmp_le_i32_e64 s0, s21, v2
	s_or_b32 s0, vcc_lo, s0
	s_nor_b32 s73, s71, s0
	s_delay_alu instid0(SALU_CYCLE_1)
	s_and_saveexec_b32 s0, s73
	s_cbranch_execz .LBB47_13
; %bb.15:                               ;   in Loop: Header=BB47_14 Depth=4
	v_mul_u64_e32 v[18:19], s[8:9], v[2:3]
	s_load_u16 s73, s[58:59], 0x0
	s_wait_kmcnt 0x0
	s_lshl_b32 s73, s73, 16
	s_delay_alu instid0(VALU_DEP_1)
	v_lshl_add_u64 v[18:19], v[18:19], 1, v[14:15]
	global_load_u16 v17, v[18:19], off
	s_wait_xcnt 0x0
	v_cvt_f64_f32_e32 v[18:19], s73
	s_wait_loadcnt 0x0
	v_lshlrev_b32_e32 v17, 16, v17
	s_delay_alu instid0(VALU_DEP_1) | instskip(NEXT) | instid1(VALU_DEP_1)
	v_cvt_f64_f32_e32 v[20:21], v17
	v_fmac_f64_e32 v[6:7], v[20:21], v[18:19]
	s_branch .LBB47_13
.LBB47_16:                              ;   in Loop: Header=BB47_3 Depth=1
	s_delay_alu instid0(VALU_DEP_1) | instskip(SKIP_2) | instid1(VALU_DEP_1)
	v_ashrrev_i32_e32 v9, 31, v8
	s_and_b32 vcc_lo, exec_lo, s66
	s_mov_b32 s0, -1
	v_mul_u64_e32 v[8:9], s[16:17], v[8:9]
	s_delay_alu instid0(VALU_DEP_1) | instskip(NEXT) | instid1(VALU_DEP_1)
	v_mad_nc_u64_u32 v[8:9], s18, v1, v[8:9]
	v_mad_u32 v2, s19, v1, v9
	v_ashrrev_i32_e32 v1, 31, v1
	s_delay_alu instid0(VALU_DEP_1) | instskip(NEXT) | instid1(VALU_DEP_1)
	v_mad_u32 v9, s18, v1, v2
	v_mad_nc_u64_u32 v[8:9], v4, s14, v[8:9]
	s_delay_alu instid0(VALU_DEP_1) | instskip(NEXT) | instid1(VALU_DEP_1)
	v_mad_u32 v1, v5, s14, v9
	v_mad_u32 v9, v4, s15, v1
	s_delay_alu instid0(VALU_DEP_1)
	v_lshl_add_u64 v[4:5], v[8:9], 1, s[34:35]
	s_cbranch_vccz .LBB47_18
; %bb.17:                               ;   in Loop: Header=BB47_3 Depth=1
	global_load_u16 v1, v[4:5], off
	s_wait_loadcnt 0x0
	v_lshlrev_b32_e32 v1, 16, v1
	s_delay_alu instid0(VALU_DEP_1) | instskip(NEXT) | instid1(VALU_DEP_1)
	v_cvt_f64_f32_e32 v[8:9], v1
	v_mul_f64_e32 v[8:9], s[42:43], v[8:9]
	s_delay_alu instid0(VALU_DEP_1) | instskip(NEXT) | instid1(VALU_DEP_1)
	v_fmac_f64_e32 v[8:9], s[40:41], v[6:7]
	v_cvt_f32_f64_e32 v1, v[8:9]
	s_delay_alu instid0(VALU_DEP_1) | instskip(SKIP_2) | instid1(VALU_DEP_3)
	v_and_b32_e32 v2, 0x7f800000, v1
	v_and_b32_e32 v8, 0xffff, v1
	v_lshrrev_b32_e32 v1, 16, v1
	v_cmp_eq_u32_e32 vcc_lo, 0x7f800000, v2
	s_delay_alu instid0(VALU_DEP_3) | instskip(SKIP_1) | instid1(SALU_CYCLE_1)
	v_cmp_ne_u32_e64 s0, 0, v8
	s_and_b32 s0, vcc_lo, s0
	v_cndmask_b32_e64 v2, 0, 1, s0
	s_mov_b32 s0, 0
	s_delay_alu instid0(VALU_DEP_1)
	v_or_b32_e32 v1, v1, v2
	global_store_b16 v[4:5], v1, off
.LBB47_18:                              ;   in Loop: Header=BB47_3 Depth=1
	s_and_not1_b32 vcc_lo, exec_lo, s0
	s_cbranch_vccnz .LBB47_2
; %bb.19:                               ;   in Loop: Header=BB47_3 Depth=1
	s_wait_xcnt 0x0
	v_cvt_f32_f64_e32 v1, v[6:7]
	s_delay_alu instid0(VALU_DEP_1) | instskip(SKIP_2) | instid1(VALU_DEP_3)
	v_and_b32_e32 v2, 0x7f800000, v1
	v_and_b32_e32 v6, 0xffff, v1
	v_lshrrev_b32_e32 v1, 16, v1
	v_cmp_eq_u32_e32 vcc_lo, 0x7f800000, v2
	s_delay_alu instid0(VALU_DEP_3) | instskip(SKIP_1) | instid1(SALU_CYCLE_1)
	v_cmp_ne_u32_e64 s0, 0, v6
	s_and_b32 s0, vcc_lo, s0
	v_cndmask_b32_e64 v2, 0, 1, s0
	s_delay_alu instid0(VALU_DEP_1)
	v_or_b32_e32 v1, v1, v2
	global_store_b16 v[4:5], v1, off
	s_branch .LBB47_2
.LBB47_20:
	s_endpgm
	.section	.rodata,"a",@progbits
	.p2align	6, 0x0
	.amdhsa_kernel naive_conv_ab_nonpacked_wrw_nhwc_ushort_double_ushort
		.amdhsa_group_segment_fixed_size 0
		.amdhsa_private_segment_fixed_size 0
		.amdhsa_kernarg_size 480
		.amdhsa_user_sgpr_count 2
		.amdhsa_user_sgpr_dispatch_ptr 0
		.amdhsa_user_sgpr_queue_ptr 0
		.amdhsa_user_sgpr_kernarg_segment_ptr 1
		.amdhsa_user_sgpr_dispatch_id 0
		.amdhsa_user_sgpr_kernarg_preload_length 0
		.amdhsa_user_sgpr_kernarg_preload_offset 0
		.amdhsa_user_sgpr_private_segment_size 0
		.amdhsa_wavefront_size32 1
		.amdhsa_uses_dynamic_stack 0
		.amdhsa_enable_private_segment 0
		.amdhsa_system_sgpr_workgroup_id_x 1
		.amdhsa_system_sgpr_workgroup_id_y 0
		.amdhsa_system_sgpr_workgroup_id_z 0
		.amdhsa_system_sgpr_workgroup_info 0
		.amdhsa_system_vgpr_workitem_id 0
		.amdhsa_next_free_vgpr 22
		.amdhsa_next_free_sgpr 74
		.amdhsa_named_barrier_count 0
		.amdhsa_reserve_vcc 1
		.amdhsa_float_round_mode_32 0
		.amdhsa_float_round_mode_16_64 0
		.amdhsa_float_denorm_mode_32 3
		.amdhsa_float_denorm_mode_16_64 3
		.amdhsa_fp16_overflow 0
		.amdhsa_memory_ordered 1
		.amdhsa_forward_progress 1
		.amdhsa_inst_pref_size 13
		.amdhsa_round_robin_scheduling 0
		.amdhsa_exception_fp_ieee_invalid_op 0
		.amdhsa_exception_fp_denorm_src 0
		.amdhsa_exception_fp_ieee_div_zero 0
		.amdhsa_exception_fp_ieee_overflow 0
		.amdhsa_exception_fp_ieee_underflow 0
		.amdhsa_exception_fp_ieee_inexact 0
		.amdhsa_exception_int_div_zero 0
	.end_amdhsa_kernel
	.text
.Lfunc_end47:
	.size	naive_conv_ab_nonpacked_wrw_nhwc_ushort_double_ushort, .Lfunc_end47-naive_conv_ab_nonpacked_wrw_nhwc_ushort_double_ushort
                                        ; -- End function
	.set naive_conv_ab_nonpacked_wrw_nhwc_ushort_double_ushort.num_vgpr, 22
	.set naive_conv_ab_nonpacked_wrw_nhwc_ushort_double_ushort.num_agpr, 0
	.set naive_conv_ab_nonpacked_wrw_nhwc_ushort_double_ushort.numbered_sgpr, 74
	.set naive_conv_ab_nonpacked_wrw_nhwc_ushort_double_ushort.num_named_barrier, 0
	.set naive_conv_ab_nonpacked_wrw_nhwc_ushort_double_ushort.private_seg_size, 0
	.set naive_conv_ab_nonpacked_wrw_nhwc_ushort_double_ushort.uses_vcc, 1
	.set naive_conv_ab_nonpacked_wrw_nhwc_ushort_double_ushort.uses_flat_scratch, 0
	.set naive_conv_ab_nonpacked_wrw_nhwc_ushort_double_ushort.has_dyn_sized_stack, 0
	.set naive_conv_ab_nonpacked_wrw_nhwc_ushort_double_ushort.has_recursion, 0
	.set naive_conv_ab_nonpacked_wrw_nhwc_ushort_double_ushort.has_indirect_call, 0
	.section	.AMDGPU.csdata,"",@progbits
; Kernel info:
; codeLenInByte = 1636
; TotalNumSgprs: 76
; NumVgprs: 22
; ScratchSize: 0
; MemoryBound: 0
; FloatMode: 240
; IeeeMode: 1
; LDSByteSize: 0 bytes/workgroup (compile time only)
; SGPRBlocks: 0
; VGPRBlocks: 1
; NumSGPRsForWavesPerEU: 76
; NumVGPRsForWavesPerEU: 22
; NamedBarCnt: 0
; Occupancy: 16
; WaveLimiterHint : 0
; COMPUTE_PGM_RSRC2:SCRATCH_EN: 0
; COMPUTE_PGM_RSRC2:USER_SGPR: 2
; COMPUTE_PGM_RSRC2:TRAP_HANDLER: 0
; COMPUTE_PGM_RSRC2:TGID_X_EN: 1
; COMPUTE_PGM_RSRC2:TGID_Y_EN: 0
; COMPUTE_PGM_RSRC2:TGID_Z_EN: 0
; COMPUTE_PGM_RSRC2:TIDIG_COMP_CNT: 0
	.text
	.protected	naive_conv_ab_packed_fwd_ncdhw_float_double_float ; -- Begin function naive_conv_ab_packed_fwd_ncdhw_float_double_float
	.globl	naive_conv_ab_packed_fwd_ncdhw_float_double_float
	.p2align	8
	.type	naive_conv_ab_packed_fwd_ncdhw_float_double_float,@function
naive_conv_ab_packed_fwd_ncdhw_float_double_float: ; @naive_conv_ab_packed_fwd_ncdhw_float_double_float
; %bb.0:
	s_load_b512 s[4:19], s[0:1], 0xb8
	s_bfe_u32 s2, ttmp6, 0x4000c
	s_and_b32 s3, ttmp6, 15
	s_add_co_i32 s2, s2, 1
	s_getreg_b32 s20, hwreg(HW_REG_IB_STS2, 6, 4)
	s_mul_i32 s2, ttmp9, s2
	s_delay_alu instid0(SALU_CYCLE_1)
	s_add_co_i32 s3, s3, s2
	s_cmp_eq_u32 s20, 0
	s_cselect_b32 s20, ttmp9, s3
	s_wait_kmcnt 0x0
	s_abs_i32 s3, s8
	s_mul_i32 s48, s12, s11
	s_cvt_f32_u32 s2, s3
	s_mul_i32 s33, s48, s10
	s_delay_alu instid0(SALU_CYCLE_2) | instskip(SKIP_1) | instid1(TRANS32_DEP_1)
	v_rcp_iflag_f32_e32 v1, s2
	v_nop
	v_readfirstlane_b32 s2, v1
	s_mul_f32 s2, s2, 0x4f7ffffe
	s_delay_alu instid0(SALU_CYCLE_3) | instskip(SKIP_1) | instid1(SALU_CYCLE_2)
	s_cvt_u32_f32 s21, s2
	s_sub_co_i32 s2, 0, s3
	s_mul_i32 s2, s2, s21
	s_delay_alu instid0(SALU_CYCLE_1) | instskip(SKIP_2) | instid1(SALU_CYCLE_1)
	s_mul_hi_u32 s22, s21, s2
	s_abs_i32 s2, s20
	s_add_co_i32 s21, s21, s22
	s_mul_hi_u32 s21, s2, s21
	s_delay_alu instid0(SALU_CYCLE_1) | instskip(SKIP_2) | instid1(SALU_CYCLE_1)
	s_mul_i32 s22, s21, s3
	s_add_co_i32 s23, s21, 1
	s_sub_co_i32 s22, s2, s22
	s_sub_co_i32 s24, s22, s3
	s_cmp_ge_u32 s22, s3
	s_cselect_b32 s21, s23, s21
	s_cselect_b32 s22, s24, s22
	s_add_co_i32 s23, s21, 1
	s_cmp_ge_u32 s22, s3
	s_mul_i32 s22, s8, s7
	s_cselect_b32 s25, s23, s21
	s_abs_i32 s23, s7
	s_abs_i32 s7, s22
	s_cvt_f32_u32 s3, s23
	s_cvt_f32_u32 s21, s7
	s_delay_alu instid0(SALU_CYCLE_2) | instskip(NEXT) | instid1(SALU_CYCLE_2)
	v_rcp_iflag_f32_e32 v1, s3
	v_rcp_iflag_f32_e32 v2, s21
	s_mov_b32 s3, 0
	s_mov_b32 s21, exec_lo
	s_delay_alu instid0(TRANS32_DEP_2) | instskip(NEXT) | instid1(TRANS32_DEP_1)
	v_readfirstlane_b32 s26, v1
	v_readfirstlane_b32 s24, v2
	v_cmpx_gt_i32_e64 s33, v0
	s_cbranch_execz .LBB48_20
; %bb.1:
	s_ashr_i32 s28, s20, 31
	s_ashr_i32 s21, s8, 31
	s_mul_f32 s26, s26, 0x4f7ffffe
	s_xor_b32 s27, s28, s21
	s_sub_co_i32 s34, 0, s7
	s_xor_b32 s25, s25, s27
	s_cvt_u32_f32 s26, s26
	s_sub_co_i32 s29, s25, s27
	s_sub_co_i32 s25, 0, s23
	s_mul_f32 s27, s24, 0x4f7ffffe
	s_mul_i32 s25, s25, s26
	s_abs_i32 s24, s29
	s_mul_hi_u32 s25, s26, s25
	s_cvt_u32_f32 s31, s27
	s_add_co_i32 s26, s26, s25
	s_mov_b32 s25, s3
	s_mov_b32 s27, s3
	s_mul_i32 s34, s34, s31
	s_mul_u64 s[26:27], s[24:25], s[26:27]
	s_ashr_i32 s36, s22, 31
	s_mul_i32 s22, s27, s23
	s_ashr_i32 s30, s29, 31
	s_mul_hi_u32 s25, s31, s34
	s_mul_i32 s29, s29, s8
	s_sub_co_i32 s24, s24, s22
	s_add_co_i32 s26, s31, s25
	s_sub_co_i32 s22, s20, s29
	s_sub_co_i32 s20, s24, s23
	s_cmp_ge_u32 s24, s23
	s_clause 0x1
	s_load_b64 s[34:35], s[0:1], 0x108
	s_load_b32 s49, s[0:1], 0x11c
	s_cselect_b32 s20, s20, s24
	s_mov_b32 s27, s3
	s_sub_co_i32 s24, s20, s23
	s_cmp_ge_u32 s20, s23
	s_mov_b32 s38, s5
	s_cselect_b32 s20, s24, s20
	s_mul_u64 s[24:25], s[2:3], s[26:27]
	s_xor_b32 s20, s20, s30
	s_xor_b32 s23, s28, s36
	s_sub_co_i32 s24, s20, s30
	s_mul_i32 s20, s25, s7
	s_clause 0x1
	s_load_b128 s[28:31], s[0:1], 0xf8
	s_load_b64 s[56:57], s[0:1], 0x20
	s_sub_co_i32 s2, s2, s20
	s_add_co_i32 s20, s25, 1
	s_sub_co_i32 s26, s2, s7
	s_cmp_ge_u32 s2, s7
	s_mov_b32 s36, s4
	s_cselect_b32 s20, s20, s25
	s_cselect_b32 s2, s26, s2
	s_add_co_i32 s25, s20, 1
	s_cmp_ge_u32 s2, s7
	s_wait_kmcnt 0x0
	s_mul_i32 s26, s35, s9
	s_cselect_b32 s2, s25, s20
	s_ashr_i32 s25, s24, 31
	s_xor_b32 s2, s2, s23
	s_ashr_i32 s27, s26, 31
	s_sub_co_i32 s40, s2, s23
	s_ashr_i32 s37, s4, 31
	s_ashr_i32 s39, s5, 31
	;; [unrolled: 1-line block ×4, first 2 shown]
	s_mov_b32 s4, s9
	s_mul_u64 s[26:27], s[24:25], s[26:27]
	s_ashr_i32 s7, s6, 31
	s_mul_u64 s[42:43], s[40:41], s[4:5]
	s_mul_u64 s[44:45], s[38:39], s[36:37]
	s_mov_b32 s20, s8
	s_add_nc_u64 s[26:27], s[42:43], s[26:27]
	s_mul_u64 s[42:43], s[44:45], s[6:7]
	s_mul_i32 s44, s35, s8
	s_mul_u64 s[20:21], s[40:41], s[20:21]
	s_ashr_i32 s23, s22, 31
	s_mul_u64 s[26:27], s[42:43], s[26:27]
	s_ashr_i32 s45, s44, 31
	s_add_nc_u64 s[52:53], s[20:21], s[22:23]
	s_ashr_i32 s23, s10, 31
	s_mov_b32 s22, s10
	s_ashr_i32 s43, s11, 31
	s_mov_b32 s42, s11
	s_mul_u64 s[20:21], s[24:25], s[44:45]
	s_ashr_i32 s45, s12, 31
	s_mov_b32 s44, s12
	s_mul_u64 s[22:23], s[42:43], s[22:23]
	s_add_nc_u64 s[20:21], s[52:53], s[20:21]
	s_mul_u64 s[22:23], s[22:23], s[44:45]
	s_lshl_b64 s[50:51], s[26:27], 2
	s_mul_u64 s[20:21], s[22:23], s[20:21]
	s_ashr_i32 s41, s30, 31
	s_ashr_i32 s47, s31, 31
	;; [unrolled: 1-line block ×3, first 2 shown]
	s_lshl_b64 s[54:55], s[20:21], 2
	s_cmp_gt_i32 s9, 0
	s_load_b256 s[20:27], s[0:1], 0x0
	s_cselect_b32 s43, -1, 0
	s_cmp_gt_i32 s30, 0
	s_mov_b32 s40, s30
	s_cselect_b32 s66, -1, 0
	s_cmp_gt_i32 s31, 0
	s_mov_b32 s46, s31
	s_wait_xcnt 0x0
	s_cselect_b32 s1, -1, 0
	s_cmp_gt_i32 s34, 0
	v_mov_b32_e32 v3, 0
	s_cselect_b32 s67, -1, 0
	s_abs_i32 s12, s12
	s_abs_i32 s68, s11
	s_cvt_f32_u32 s0, s12
	s_add_nc_u64 s[10:11], s[56:57], s[54:55]
	s_abs_i32 s69, s48
	s_sub_co_i32 s30, 0, s12
	v_rcp_iflag_f32_e32 v1, s0
	s_cvt_f32_u32 s0, s68
	s_and_b32 s70, s49, 0xffff
	s_wait_kmcnt 0x0
	v_cmp_neq_f64_e64 s56, s[26:27], 0
	s_add_nc_u64 s[8:9], s[20:21], s[50:51]
	s_cvt_f32_u32 s21, s69
	s_sub_co_i32 s31, 0, s68
	v_readfirstlane_b32 s2, v1
	v_rcp_iflag_f32_e32 v1, s0
	v_cmp_neq_f64_e64 s0, s[24:25], 1.0
	s_mul_u64 s[54:55], s[34:35], s[46:47]
	s_ashr_i32 s71, s48, 31
	s_mul_f32 s2, s2, 0x4f7ffffe
	s_mul_u64 s[50:51], s[54:55], s[40:41]
	s_sub_co_i32 s47, 0, s69
	v_readfirstlane_b32 s20, v1
	v_rcp_iflag_f32_e32 v1, s21
	s_cvt_u32_f32 s2, s2
	s_mul_f32 s20, s20, 0x4f7ffffe
	s_delay_alu instid0(SALU_CYCLE_2) | instskip(SKIP_1) | instid1(TRANS32_DEP_1)
	s_mul_i32 s30, s30, s2
	v_nop
	v_readfirstlane_b32 s49, v1
	s_mul_hi_u32 s21, s2, s30
	s_cvt_u32_f32 s30, s20
	s_add_co_i32 s20, s2, s21
	s_mov_b32 s21, s3
	s_mul_f32 s49, s49, 0x4f7ffffe
	s_mul_i32 s31, s31, s30
	s_delay_alu instid0(SALU_CYCLE_1)
	s_mul_hi_u32 s2, s30, s31
	s_mov_b32 s31, s3
	s_add_co_i32 s30, s30, s2
	s_cvt_u32_f32 s2, s49
	s_mul_u64 s[48:49], s[50:51], s[52:53]
	s_lshl_b64 s[50:51], s[50:51], 2
	s_mul_u64 s[52:53], s[48:49], s[4:5]
	s_mul_i32 s47, s47, s2
	s_lshl_b64 s[52:53], s[52:53], 2
	s_mul_hi_u32 s41, s2, s47
	s_mov_b32 s49, s3
	s_add_co_i32 s48, s2, s41
	s_add_nc_u64 s[22:23], s[22:23], s[52:53]
	s_or_b32 s5, s0, s56
	s_lshl_b64 s[52:53], s[54:55], 2
	s_lshl_b64 s[54:55], s[34:35], 2
	s_mov_b32 s35, 0
	s_branch .LBB48_3
.LBB48_2:                               ;   in Loop: Header=BB48_3 Depth=1
	s_delay_alu instid0(VALU_DEP_1) | instskip(SKIP_1) | instid1(VALU_DEP_1)
	v_cvt_f32_f64_e32 v1, v[6:7]
	v_add_nc_u32_e32 v0, s70, v0
	v_cmp_le_i32_e32 vcc_lo, s33, v0
	s_or_b32 s35, vcc_lo, s35
	global_store_b32 v[4:5], v1, off
	s_wait_xcnt 0x0
	s_and_not1_b32 exec_lo, exec_lo, s35
	s_cbranch_execz .LBB48_20
.LBB48_3:                               ; =>This Loop Header: Depth=1
                                        ;     Child Loop BB48_6 Depth 2
                                        ;       Child Loop BB48_9 Depth 3
                                        ;         Child Loop BB48_12 Depth 4
                                        ;           Child Loop BB48_15 Depth 5
	v_dual_sub_nc_u32 v1, 0, v0 :: v_dual_ashrrev_i32 v10, 31, v0
	s_delay_alu instid0(VALU_DEP_1) | instskip(NEXT) | instid1(VALU_DEP_1)
	v_max_i32_e32 v2, v0, v1
	v_mul_u64_e32 v[4:5], s[20:21], v[2:3]
	s_delay_alu instid0(VALU_DEP_1) | instskip(SKIP_1) | instid1(VALU_DEP_2)
	v_mul_lo_u32 v1, v5, s12
	v_add_nc_u32_e32 v4, 1, v5
	v_sub_nc_u32_e32 v1, v2, v1
	s_delay_alu instid0(VALU_DEP_1) | instskip(SKIP_1) | instid1(VALU_DEP_4)
	v_subrev_nc_u32_e32 v6, s12, v1
	v_cmp_le_u32_e32 vcc_lo, s12, v1
	v_cndmask_b32_e32 v4, v5, v4, vcc_lo
	s_delay_alu instid0(VALU_DEP_3) | instskip(SKIP_1) | instid1(VALU_DEP_3)
	v_cndmask_b32_e32 v1, v1, v6, vcc_lo
	v_mul_u64_e32 v[8:9], s[48:49], v[2:3]
	v_add_nc_u32_e32 v5, 1, v4
	s_delay_alu instid0(VALU_DEP_3) | instskip(NEXT) | instid1(VALU_DEP_2)
	v_cmp_le_u32_e32 vcc_lo, s12, v1
	v_dual_cndmask_b32 v1, v4, v5, vcc_lo :: v_dual_bitop2_b32 v6, s45, v10 bitop3:0x14
	s_delay_alu instid0(VALU_DEP_1) | instskip(NEXT) | instid1(VALU_DEP_1)
	v_dual_mov_b32 v5, v3 :: v_dual_bitop2_b32 v1, v1, v6 bitop3:0x14
	v_sub_nc_u32_e32 v1, v1, v6
	s_delay_alu instid0(VALU_DEP_1) | instskip(NEXT) | instid1(VALU_DEP_1)
	v_sub_nc_u32_e32 v4, 0, v1
	v_max_i32_e32 v4, v1, v4
	s_delay_alu instid0(VALU_DEP_1) | instskip(SKIP_1) | instid1(VALU_DEP_1)
	v_mul_u64_e32 v[6:7], s[30:31], v[4:5]
	v_mul_lo_u32 v6, v9, s69
	v_dual_sub_nc_u32 v2, v2, v6 :: v_dual_add_nc_u32 v6, 1, v9
	s_delay_alu instid0(VALU_DEP_1) | instskip(NEXT) | instid1(VALU_DEP_4)
	v_cmp_le_u32_e32 vcc_lo, s69, v2
	v_mul_lo_u32 v5, v7, s68
	v_subrev_nc_u32_e32 v7, s69, v2
	s_delay_alu instid0(VALU_DEP_1) | instskip(NEXT) | instid1(VALU_DEP_1)
	v_dual_cndmask_b32 v2, v2, v7, vcc_lo :: v_dual_sub_nc_u32 v4, v4, v5
	v_subrev_nc_u32_e32 v5, s68, v4
	v_cmp_le_u32_e64 s0, s68, v4
	s_delay_alu instid0(VALU_DEP_1) | instskip(SKIP_2) | instid1(VALU_DEP_3)
	v_dual_cndmask_b32 v4, v4, v5, s0 :: v_dual_cndmask_b32 v5, v9, v6, vcc_lo
	v_xor_b32_e32 v6, s71, v10
	v_mul_lo_u32 v9, v1, s44
	v_subrev_nc_u32_e32 v7, s68, v4
	v_cmp_le_u32_e32 vcc_lo, s68, v4
	s_delay_alu instid0(VALU_DEP_2) | instskip(SKIP_1) | instid1(VALU_DEP_2)
	v_dual_add_nc_u32 v8, 1, v5 :: v_dual_cndmask_b32 v4, v4, v7, vcc_lo
	v_cmp_le_u32_e32 vcc_lo, s69, v2
	v_dual_cndmask_b32 v2, v5, v8 :: v_dual_ashrrev_i32 v1, 31, v1
	s_and_not1_b32 vcc_lo, exec_lo, s43
	s_delay_alu instid0(VALU_DEP_1) | instskip(NEXT) | instid1(VALU_DEP_2)
	v_xor_b32_e32 v2, v2, v6
	v_xor_b32_e32 v5, v4, v1
	v_sub_nc_u32_e32 v4, v0, v9
	s_delay_alu instid0(VALU_DEP_2)
	v_dual_sub_nc_u32 v8, v5, v1 :: v_dual_sub_nc_u32 v1, v2, v6
	s_cbranch_vccnz .LBB48_17
; %bb.4:                                ;   in Loop: Header=BB48_3 Depth=1
	s_delay_alu instid0(VALU_DEP_1) | instskip(NEXT) | instid1(VALU_DEP_2)
	v_mul_lo_u32 v2, v1, s13
	v_mul_lo_u32 v9, v8, s14
	;; [unrolled: 1-line block ×3, first 2 shown]
	v_mov_b64_e32 v[6:7], 0
	s_mov_b32 s2, 0
	s_mov_b64 s[56:57], s[22:23]
	s_delay_alu instid0(VALU_DEP_4) | instskip(NEXT) | instid1(VALU_DEP_4)
	v_subrev_nc_u32_e32 v5, s19, v2
	v_subrev_nc_u32_e32 v9, s28, v9
	s_delay_alu instid0(VALU_DEP_4)
	v_subrev_nc_u32_e32 v14, s29, v10
	s_branch .LBB48_6
.LBB48_5:                               ;   in Loop: Header=BB48_6 Depth=2
	s_add_co_i32 s2, s2, 1
	s_add_nc_u64 s[56:57], s[56:57], s[50:51]
	s_cmp_eq_u32 s2, s4
	s_cbranch_scc1 .LBB48_18
.LBB48_6:                               ;   Parent Loop BB48_3 Depth=1
                                        ; =>  This Loop Header: Depth=2
                                        ;       Child Loop BB48_9 Depth 3
                                        ;         Child Loop BB48_12 Depth 4
                                        ;           Child Loop BB48_15 Depth 5
	s_and_not1_b32 vcc_lo, exec_lo, s66
	s_cbranch_vccnz .LBB48_5
; %bb.7:                                ;   in Loop: Header=BB48_6 Depth=2
	s_mul_u64 s[58:59], s[2:3], s[36:37]
	s_mov_b32 s41, 0
	s_mov_b64 s[60:61], s[56:57]
	s_branch .LBB48_9
.LBB48_8:                               ;   in Loop: Header=BB48_9 Depth=3
	s_add_co_i32 s41, s41, 1
	s_add_nc_u64 s[60:61], s[60:61], s[52:53]
	s_cmp_eq_u32 s41, s40
	s_cbranch_scc1 .LBB48_5
.LBB48_9:                               ;   Parent Loop BB48_3 Depth=1
                                        ;     Parent Loop BB48_6 Depth=2
                                        ; =>    This Loop Header: Depth=3
                                        ;         Child Loop BB48_12 Depth 4
                                        ;           Child Loop BB48_15 Depth 5
	s_and_not1_b32 vcc_lo, exec_lo, s1
	s_cbranch_vccnz .LBB48_8
; %bb.10:                               ;   in Loop: Header=BB48_9 Depth=3
	v_mad_u32 v2, s41, s16, v5
	s_mov_b32 s47, 0
	s_mov_b64 s[62:63], s[60:61]
	s_delay_alu instid0(VALU_DEP_1)
	v_add_nc_u64_e32 v[10:11], s[58:59], v[2:3]
	v_cmp_gt_i32_e32 vcc_lo, 0, v2
	v_cmp_le_i32_e64 s0, s36, v2
	s_or_b32 s72, vcc_lo, s0
	v_mul_u64_e32 v[10:11], s[38:39], v[10:11]
	s_branch .LBB48_12
.LBB48_11:                              ;   in Loop: Header=BB48_12 Depth=4
	s_add_co_i32 s47, s47, 1
	s_add_nc_u64 s[62:63], s[62:63], s[54:55]
	s_cmp_eq_u32 s47, s46
	s_cbranch_scc1 .LBB48_8
.LBB48_12:                              ;   Parent Loop BB48_3 Depth=1
                                        ;     Parent Loop BB48_6 Depth=2
                                        ;       Parent Loop BB48_9 Depth=3
                                        ; =>      This Loop Header: Depth=4
                                        ;           Child Loop BB48_15 Depth 5
	s_and_not1_b32 vcc_lo, exec_lo, s67
	s_cbranch_vccnz .LBB48_11
; %bb.13:                               ;   in Loop: Header=BB48_12 Depth=4
	v_mad_u32 v2, s47, s17, v9
	s_mov_b64 s[64:65], s[62:63]
	s_mov_b32 s74, s34
	s_delay_alu instid0(VALU_DEP_1)
	v_add_nc_u64_e32 v[12:13], v[10:11], v[2:3]
	v_cmp_gt_i32_e32 vcc_lo, 0, v2
	v_cmp_le_i32_e64 s0, s38, v2
	v_mov_b32_e32 v2, v14
	s_or_b32 s0, vcc_lo, s0
	v_mul_u64_e32 v[12:13], s[6:7], v[12:13]
	s_or_b32 s73, s72, s0
	s_delay_alu instid0(VALU_DEP_1)
	v_lshl_add_u64 v[12:13], v[12:13], 2, s[8:9]
	s_branch .LBB48_15
.LBB48_14:                              ;   in Loop: Header=BB48_15 Depth=5
	s_or_b32 exec_lo, exec_lo, s0
	v_add_nc_u32_e32 v2, s18, v2
	s_add_co_i32 s74, s74, -1
	s_add_nc_u64 s[64:65], s[64:65], 4
	s_cmp_eq_u32 s74, 0
	s_cbranch_scc1 .LBB48_11
.LBB48_15:                              ;   Parent Loop BB48_3 Depth=1
                                        ;     Parent Loop BB48_6 Depth=2
                                        ;       Parent Loop BB48_9 Depth=3
                                        ;         Parent Loop BB48_12 Depth=4
                                        ; =>        This Inner Loop Header: Depth=5
	v_cmp_gt_i32_e32 vcc_lo, 0, v2
	v_cmp_le_i32_e64 s0, s6, v2
	s_or_b32 s0, vcc_lo, s0
	s_delay_alu instid0(SALU_CYCLE_1) | instskip(NEXT) | instid1(SALU_CYCLE_1)
	s_nor_b32 s75, s73, s0
	s_and_saveexec_b32 s0, s75
	s_cbranch_execz .LBB48_14
; %bb.16:                               ;   in Loop: Header=BB48_15 Depth=5
	v_lshl_add_u64 v[16:17], v[2:3], 2, v[12:13]
	s_load_b32 s75, s[64:65], 0x0
	global_load_b32 v15, v[16:17], off
	s_wait_kmcnt 0x0
	v_cvt_f64_f32_e32 v[18:19], s75
	s_wait_loadcnt 0x0
	s_wait_xcnt 0x0
	v_cvt_f64_f32_e32 v[16:17], v15
	s_delay_alu instid0(VALU_DEP_1)
	v_fmac_f64_e32 v[6:7], v[16:17], v[18:19]
	s_branch .LBB48_14
.LBB48_17:                              ;   in Loop: Header=BB48_3 Depth=1
	v_mov_b64_e32 v[6:7], 0
.LBB48_18:                              ;   in Loop: Header=BB48_3 Depth=1
	s_delay_alu instid0(VALU_DEP_2) | instskip(SKIP_2) | instid1(VALU_DEP_2)
	v_ashrrev_i32_e32 v9, 31, v8
	v_ashrrev_i32_e32 v5, 31, v4
	s_and_not1_b32 vcc_lo, exec_lo, s5
	v_mad_nc_i64_i32 v[8:9], v1, s42, v[8:9]
	s_delay_alu instid0(VALU_DEP_1) | instskip(NEXT) | instid1(VALU_DEP_1)
	v_mul_u64_e32 v[8:9], s[44:45], v[8:9]
	v_lshl_add_u64 v[8:9], v[8:9], 2, s[10:11]
	s_delay_alu instid0(VALU_DEP_1)
	v_lshl_add_u64 v[4:5], v[4:5], 2, v[8:9]
	s_cbranch_vccnz .LBB48_2
; %bb.19:                               ;   in Loop: Header=BB48_3 Depth=1
	global_load_b32 v1, v[4:5], off
	s_wait_loadcnt 0x0
	v_cvt_f64_f32_e32 v[8:9], v1
	s_delay_alu instid0(VALU_DEP_1) | instskip(NEXT) | instid1(VALU_DEP_1)
	v_mul_f64_e32 v[8:9], s[26:27], v[8:9]
	v_fmac_f64_e32 v[8:9], s[24:25], v[6:7]
	s_delay_alu instid0(VALU_DEP_1)
	v_mov_b64_e32 v[6:7], v[8:9]
	s_branch .LBB48_2
.LBB48_20:
	s_endpgm
	.section	.rodata,"a",@progbits
	.p2align	6, 0x0
	.amdhsa_kernel naive_conv_ab_packed_fwd_ncdhw_float_double_float
		.amdhsa_group_segment_fixed_size 0
		.amdhsa_private_segment_fixed_size 0
		.amdhsa_kernarg_size 528
		.amdhsa_user_sgpr_count 2
		.amdhsa_user_sgpr_dispatch_ptr 0
		.amdhsa_user_sgpr_queue_ptr 0
		.amdhsa_user_sgpr_kernarg_segment_ptr 1
		.amdhsa_user_sgpr_dispatch_id 0
		.amdhsa_user_sgpr_kernarg_preload_length 0
		.amdhsa_user_sgpr_kernarg_preload_offset 0
		.amdhsa_user_sgpr_private_segment_size 0
		.amdhsa_wavefront_size32 1
		.amdhsa_uses_dynamic_stack 0
		.amdhsa_enable_private_segment 0
		.amdhsa_system_sgpr_workgroup_id_x 1
		.amdhsa_system_sgpr_workgroup_id_y 0
		.amdhsa_system_sgpr_workgroup_id_z 0
		.amdhsa_system_sgpr_workgroup_info 0
		.amdhsa_system_vgpr_workitem_id 0
		.amdhsa_next_free_vgpr 20
		.amdhsa_next_free_sgpr 76
		.amdhsa_named_barrier_count 0
		.amdhsa_reserve_vcc 1
		.amdhsa_float_round_mode_32 0
		.amdhsa_float_round_mode_16_64 0
		.amdhsa_float_denorm_mode_32 3
		.amdhsa_float_denorm_mode_16_64 3
		.amdhsa_fp16_overflow 0
		.amdhsa_memory_ordered 1
		.amdhsa_forward_progress 1
		.amdhsa_inst_pref_size 14
		.amdhsa_round_robin_scheduling 0
		.amdhsa_exception_fp_ieee_invalid_op 0
		.amdhsa_exception_fp_denorm_src 0
		.amdhsa_exception_fp_ieee_div_zero 0
		.amdhsa_exception_fp_ieee_overflow 0
		.amdhsa_exception_fp_ieee_underflow 0
		.amdhsa_exception_fp_ieee_inexact 0
		.amdhsa_exception_int_div_zero 0
	.end_amdhsa_kernel
	.text
.Lfunc_end48:
	.size	naive_conv_ab_packed_fwd_ncdhw_float_double_float, .Lfunc_end48-naive_conv_ab_packed_fwd_ncdhw_float_double_float
                                        ; -- End function
	.set naive_conv_ab_packed_fwd_ncdhw_float_double_float.num_vgpr, 20
	.set naive_conv_ab_packed_fwd_ncdhw_float_double_float.num_agpr, 0
	.set naive_conv_ab_packed_fwd_ncdhw_float_double_float.numbered_sgpr, 76
	.set naive_conv_ab_packed_fwd_ncdhw_float_double_float.num_named_barrier, 0
	.set naive_conv_ab_packed_fwd_ncdhw_float_double_float.private_seg_size, 0
	.set naive_conv_ab_packed_fwd_ncdhw_float_double_float.uses_vcc, 1
	.set naive_conv_ab_packed_fwd_ncdhw_float_double_float.uses_flat_scratch, 0
	.set naive_conv_ab_packed_fwd_ncdhw_float_double_float.has_dyn_sized_stack, 0
	.set naive_conv_ab_packed_fwd_ncdhw_float_double_float.has_recursion, 0
	.set naive_conv_ab_packed_fwd_ncdhw_float_double_float.has_indirect_call, 0
	.section	.AMDGPU.csdata,"",@progbits
; Kernel info:
; codeLenInByte = 1788
; TotalNumSgprs: 78
; NumVgprs: 20
; ScratchSize: 0
; MemoryBound: 0
; FloatMode: 240
; IeeeMode: 1
; LDSByteSize: 0 bytes/workgroup (compile time only)
; SGPRBlocks: 0
; VGPRBlocks: 1
; NumSGPRsForWavesPerEU: 78
; NumVGPRsForWavesPerEU: 20
; NamedBarCnt: 0
; Occupancy: 16
; WaveLimiterHint : 1
; COMPUTE_PGM_RSRC2:SCRATCH_EN: 0
; COMPUTE_PGM_RSRC2:USER_SGPR: 2
; COMPUTE_PGM_RSRC2:TRAP_HANDLER: 0
; COMPUTE_PGM_RSRC2:TGID_X_EN: 1
; COMPUTE_PGM_RSRC2:TGID_Y_EN: 0
; COMPUTE_PGM_RSRC2:TGID_Z_EN: 0
; COMPUTE_PGM_RSRC2:TIDIG_COMP_CNT: 0
	.text
	.protected	naive_conv_ab_nonpacked_fwd_ncdhw_float_double_float ; -- Begin function naive_conv_ab_nonpacked_fwd_ncdhw_float_double_float
	.globl	naive_conv_ab_nonpacked_fwd_ncdhw_float_double_float
	.p2align	8
	.type	naive_conv_ab_nonpacked_fwd_ncdhw_float_double_float,@function
naive_conv_ab_nonpacked_fwd_ncdhw_float_double_float: ; @naive_conv_ab_nonpacked_fwd_ncdhw_float_double_float
; %bb.0:
	s_load_b512 s[4:19], s[0:1], 0xb8
	s_bfe_u32 s2, ttmp6, 0x4000c
	s_and_b32 s3, ttmp6, 15
	s_add_co_i32 s2, s2, 1
	s_getreg_b32 s20, hwreg(HW_REG_IB_STS2, 6, 4)
	s_mul_i32 s2, ttmp9, s2
	s_mov_b32 s26, exec_lo
	s_add_co_i32 s3, s3, s2
	s_cmp_eq_u32 s20, 0
	s_cselect_b32 s20, ttmp9, s3
	s_wait_kmcnt 0x0
	s_abs_i32 s3, s8
	s_mul_i32 s79, s12, s11
	s_cvt_f32_u32 s2, s3
	s_delay_alu instid0(SALU_CYCLE_3) | instskip(SKIP_1) | instid1(TRANS32_DEP_1)
	v_rcp_iflag_f32_e32 v1, s2
	v_nop
	v_readfirstlane_b32 s2, v1
	s_mul_f32 s2, s2, 0x4f7ffffe
	s_delay_alu instid0(SALU_CYCLE_3) | instskip(SKIP_1) | instid1(SALU_CYCLE_2)
	s_cvt_u32_f32 s21, s2
	s_sub_co_i32 s2, 0, s3
	s_mul_i32 s2, s2, s21
	s_delay_alu instid0(SALU_CYCLE_1) | instskip(SKIP_2) | instid1(SALU_CYCLE_1)
	s_mul_hi_u32 s22, s21, s2
	s_abs_i32 s2, s20
	s_add_co_i32 s21, s21, s22
	s_mul_hi_u32 s21, s2, s21
	s_delay_alu instid0(SALU_CYCLE_1) | instskip(SKIP_2) | instid1(SALU_CYCLE_1)
	s_mul_i32 s22, s21, s3
	s_add_co_i32 s23, s21, 1
	s_sub_co_i32 s22, s2, s22
	s_sub_co_i32 s24, s22, s3
	s_cmp_ge_u32 s22, s3
	s_cselect_b32 s21, s23, s21
	s_cselect_b32 s22, s24, s22
	s_add_co_i32 s24, s21, 1
	s_cmp_ge_u32 s22, s3
	s_mul_i32 s23, s8, s7
	s_cselect_b32 s24, s24, s21
	s_abs_i32 s22, s7
	s_abs_i32 s21, s23
	s_cvt_f32_u32 s3, s22
	s_cvt_f32_u32 s7, s21
	s_delay_alu instid0(SALU_CYCLE_2) | instskip(NEXT) | instid1(SALU_CYCLE_2)
	v_rcp_iflag_f32_e32 v1, s3
	v_rcp_iflag_f32_e32 v2, s7
	s_mul_i32 s7, s79, s10
	s_mov_b32 s3, 0
	s_delay_alu instid0(TRANS32_DEP_2) | instskip(NEXT) | instid1(TRANS32_DEP_1)
	v_readfirstlane_b32 s25, v1
	v_readfirstlane_b32 s10, v2
	v_cmpx_gt_i32_e64 s7, v0
	s_cbranch_execz .LBB49_20
; %bb.1:
	s_ashr_i32 s28, s20, 31
	s_ashr_i32 s26, s8, 31
	s_mul_f32 s25, s25, 0x4f7ffffe
	s_xor_b32 s26, s28, s26
	s_mul_f32 s10, s10, 0x4f7ffffe
	s_xor_b32 s24, s24, s26
	s_cvt_u32_f32 s25, s25
	s_sub_co_i32 s29, s24, s26
	s_sub_co_i32 s24, 0, s22
	s_cvt_u32_f32 s10, s10
	s_mul_i32 s24, s24, s25
	s_sub_co_i32 s31, 0, s21
	s_mul_hi_u32 s26, s25, s24
	s_abs_i32 s24, s29
	s_add_co_i32 s26, s25, s26
	s_mov_b32 s25, s3
	s_mov_b32 s27, s3
	s_mul_i32 s31, s31, s10
	s_mul_u64 s[26:27], s[24:25], s[26:27]
	s_mul_hi_u32 s25, s10, s31
	s_ashr_i32 s30, s29, 31
	s_add_co_i32 s26, s10, s25
	s_mul_i32 s10, s27, s22
	s_mul_i32 s29, s29, s8
	s_sub_co_i32 s8, s24, s10
	s_ashr_i32 s31, s23, 31
	s_sub_co_i32 s68, s20, s29
	s_sub_co_i32 s10, s8, s22
	s_cmp_ge_u32 s8, s22
	s_mov_b32 s27, s3
	s_cselect_b32 s8, s10, s8
	s_load_b512 s[36:51], s[0:1], 0x28
	s_sub_co_i32 s10, s8, s22
	s_cmp_ge_u32 s8, s22
	s_mul_u64 s[22:23], s[2:3], s[26:27]
	s_cselect_b32 s8, s10, s8
	s_load_b128 s[72:75], s[0:1], 0xa8
	s_xor_b32 s8, s8, s30
	s_load_b512 s[52:67], s[0:1], 0x68
	s_sub_co_i32 s34, s8, s30
	s_mul_i32 s8, s23, s21
	s_xor_b32 s10, s28, s31
	s_sub_co_i32 s2, s2, s8
	s_add_co_i32 s8, s23, 1
	s_sub_co_i32 s20, s2, s21
	s_cmp_ge_u32 s2, s21
	s_load_b128 s[28:31], s[0:1], 0xf8
	s_cselect_b32 s8, s8, s23
	s_cselect_b32 s2, s20, s2
	s_add_co_i32 s20, s8, 1
	s_cmp_ge_u32 s2, s21
	s_load_b64 s[80:81], s[0:1], 0x20
	s_cselect_b32 s2, s20, s8
	s_load_b32 s8, s[0:1], 0x108
	s_xor_b32 s2, s2, s10
	s_ashr_i32 s35, s34, 31
	s_sub_co_i32 s70, s2, s10
	s_ashr_i32 s69, s68, 31
	s_ashr_i32 s71, s70, 31
	s_load_b256 s[20:27], s[0:1], 0x0
	s_wait_kmcnt 0x0
	s_mul_u64 s[46:47], s[46:47], s[34:35]
	s_mul_u64 s[44:45], s[44:45], s[70:71]
	;; [unrolled: 1-line block ×5, first 2 shown]
	s_lshl_b64 s[46:47], s[46:47], 2
	s_lshl_b64 s[44:45], s[44:45], 2
	;; [unrolled: 1-line block ×5, first 2 shown]
	s_cmp_gt_i32 s9, 0
	s_load_b32 s0, s[0:1], 0x11c
	s_cselect_b32 s33, -1, 0
	s_cmp_gt_i32 s30, 0
	v_mov_b32_e32 v3, 0
	s_cselect_b32 s72, -1, 0
	s_cmp_gt_i32 s31, 0
	s_cselect_b32 s73, -1, 0
	s_cmp_gt_i32 s8, 0
	s_add_nc_u64 s[20:21], s[20:21], s[46:47]
	s_wait_xcnt 0x0
	s_cselect_b32 s1, -1, 0
	s_abs_i32 s74, s12
	s_abs_i32 s75, s11
	s_cvt_f32_u32 s2, s74
	s_add_nc_u64 s[10:11], s[80:81], s[34:35]
	s_mul_u64 s[46:47], s[56:57], s[68:69]
	s_add_nc_u64 s[34:35], s[10:11], s[76:77]
	v_rcp_iflag_f32_e32 v1, s2
	s_cvt_f32_u32 s2, s75
	s_add_nc_u64 s[10:11], s[20:21], s[44:45]
	s_add_nc_u64 s[20:21], s[34:35], s[66:67]
	v_cmp_neq_f64_e64 s66, s[24:25], 1.0
	v_cmp_neq_f64_e64 s67, s[26:27], 0
	v_rcp_iflag_f32_e32 v2, s2
	s_abs_i32 s76, s79
	v_nop
	v_readfirstlane_b32 s2, v1
	s_cvt_f32_u32 s34, s76
	s_wait_kmcnt 0x0
	s_and_b32 s77, s0, 0xffff
	s_mul_u64 s[56:57], s[58:59], s[70:71]
	s_lshl_b64 s[58:59], s[46:47], 2
	s_mul_f32 s2, s2, 0x4f7ffffe
	v_rcp_iflag_f32_e32 v1, s34
	v_readfirstlane_b32 s35, v2
	s_lshl_b64 s[56:57], s[56:57], 2
	s_cvt_u32_f32 s0, s2
	s_sub_co_i32 s2, 0, s74
	s_add_nc_u64 s[56:57], s[58:59], s[56:57]
	s_mul_f32 s34, s35, 0x4f7ffffe
	v_readfirstlane_b32 s35, v1
	s_mul_i32 s2, s2, s0
	s_ashr_i32 s78, s12, 31
	s_mul_hi_u32 s2, s0, s2
	s_cvt_u32_f32 s44, s34
	s_add_co_i32 s34, s0, s2
	s_sub_co_i32 s0, 0, s75
	s_mul_f32 s2, s35, 0x4f7ffffe
	s_mul_i32 s0, s0, s44
	s_mov_b32 s35, s3
	s_mul_hi_u32 s0, s44, s0
	s_cvt_u32_f32 s2, s2
	s_add_co_i32 s44, s44, s0
	s_sub_co_i32 s0, 0, s76
	s_mov_b32 s45, s3
	s_mul_i32 s0, s0, s2
	s_ashr_i32 s79, s79, 31
	s_mul_hi_u32 s0, s2, s0
	s_mov_b32 s47, s3
	s_add_co_i32 s46, s2, s0
	s_add_nc_u64 s[22:23], s[22:23], s[56:57]
	s_lshl_b64 s[54:55], s[54:55], 2
	s_lshl_b64 s[52:53], s[52:53], 2
	s_or_b32 s80, s66, s67
	s_lshl_b64 s[50:51], s[50:51], 2
	s_lshl_b64 s[48:49], s[48:49], 2
	s_mov_b32 s81, 0
	s_branch .LBB49_3
.LBB49_2:                               ;   in Loop: Header=BB49_3 Depth=1
	s_delay_alu instid0(VALU_DEP_1) | instskip(SKIP_1) | instid1(VALU_DEP_1)
	v_cvt_f32_f64_e32 v1, v[4:5]
	v_add_nc_u32_e32 v0, s77, v0
	v_cmp_le_i32_e32 vcc_lo, s7, v0
	s_or_b32 s81, vcc_lo, s81
	global_store_b32 v[6:7], v1, off
	s_wait_xcnt 0x0
	s_and_not1_b32 exec_lo, exec_lo, s81
	s_cbranch_execz .LBB49_20
.LBB49_3:                               ; =>This Loop Header: Depth=1
                                        ;     Child Loop BB49_6 Depth 2
                                        ;       Child Loop BB49_9 Depth 3
                                        ;         Child Loop BB49_12 Depth 4
                                        ;           Child Loop BB49_15 Depth 5
	v_dual_sub_nc_u32 v1, 0, v0 :: v_dual_ashrrev_i32 v10, 31, v0
	s_delay_alu instid0(VALU_DEP_1) | instskip(NEXT) | instid1(VALU_DEP_1)
	v_max_i32_e32 v2, v0, v1
	v_mul_u64_e32 v[4:5], s[34:35], v[2:3]
	s_delay_alu instid0(VALU_DEP_1) | instskip(SKIP_1) | instid1(VALU_DEP_2)
	v_mul_lo_u32 v1, v5, s74
	v_add_nc_u32_e32 v4, 1, v5
	v_sub_nc_u32_e32 v1, v2, v1
	s_delay_alu instid0(VALU_DEP_1) | instskip(SKIP_1) | instid1(VALU_DEP_4)
	v_subrev_nc_u32_e32 v6, s74, v1
	v_cmp_le_u32_e32 vcc_lo, s74, v1
	v_cndmask_b32_e32 v4, v5, v4, vcc_lo
	s_delay_alu instid0(VALU_DEP_3) | instskip(SKIP_1) | instid1(VALU_DEP_3)
	v_cndmask_b32_e32 v1, v1, v6, vcc_lo
	v_mul_u64_e32 v[8:9], s[46:47], v[2:3]
	v_add_nc_u32_e32 v5, 1, v4
	s_delay_alu instid0(VALU_DEP_3) | instskip(NEXT) | instid1(VALU_DEP_2)
	v_cmp_le_u32_e32 vcc_lo, s74, v1
	v_dual_cndmask_b32 v1, v4, v5, vcc_lo :: v_dual_bitop2_b32 v6, s78, v10 bitop3:0x14
	s_delay_alu instid0(VALU_DEP_1) | instskip(NEXT) | instid1(VALU_DEP_1)
	v_dual_mov_b32 v5, v3 :: v_dual_bitop2_b32 v1, v1, v6 bitop3:0x14
	v_sub_nc_u32_e32 v1, v1, v6
	s_delay_alu instid0(VALU_DEP_1) | instskip(NEXT) | instid1(VALU_DEP_1)
	v_sub_nc_u32_e32 v4, 0, v1
	v_max_i32_e32 v4, v1, v4
	s_delay_alu instid0(VALU_DEP_1) | instskip(SKIP_1) | instid1(VALU_DEP_1)
	v_mul_u64_e32 v[6:7], s[44:45], v[4:5]
	v_mul_lo_u32 v6, v9, s76
	v_dual_sub_nc_u32 v2, v2, v6 :: v_dual_add_nc_u32 v6, 1, v9
	s_delay_alu instid0(VALU_DEP_1) | instskip(NEXT) | instid1(VALU_DEP_4)
	v_cmp_le_u32_e32 vcc_lo, s76, v2
	v_mul_lo_u32 v5, v7, s75
	v_subrev_nc_u32_e32 v7, s76, v2
	s_delay_alu instid0(VALU_DEP_1) | instskip(SKIP_1) | instid1(VALU_DEP_2)
	v_dual_cndmask_b32 v2, v2, v7, vcc_lo :: v_dual_sub_nc_u32 v4, v4, v5
	v_mul_lo_u32 v8, v1, s12
	v_subrev_nc_u32_e32 v5, s75, v4
	v_cmp_le_u32_e64 s0, s75, v4
	s_delay_alu instid0(VALU_DEP_1) | instskip(SKIP_1) | instid1(VALU_DEP_2)
	v_dual_cndmask_b32 v4, v4, v5, s0 :: v_dual_cndmask_b32 v5, v9, v6, vcc_lo
	v_xor_b32_e32 v9, s79, v10
	v_subrev_nc_u32_e32 v6, s75, v4
	v_cmp_le_u32_e32 vcc_lo, s75, v4
	s_delay_alu instid0(VALU_DEP_2) | instskip(SKIP_2) | instid1(VALU_DEP_1)
	v_dual_cndmask_b32 v4, v4, v6 :: v_dual_add_nc_u32 v7, 1, v5
	v_cmp_le_u32_e32 vcc_lo, s76, v2
	v_dual_ashrrev_i32 v1, 31, v1 :: v_dual_sub_nc_u32 v6, v0, v8
	v_dual_cndmask_b32 v2, v5, v7, vcc_lo :: v_dual_bitop2_b32 v4, v4, v1 bitop3:0x14
	s_and_not1_b32 vcc_lo, exec_lo, s33
	s_delay_alu instid0(VALU_DEP_1) | instskip(NEXT) | instid1(VALU_DEP_2)
	v_xor_b32_e32 v2, v2, v9
	v_sub_nc_u32_e32 v8, v4, v1
	s_delay_alu instid0(VALU_DEP_2)
	v_sub_nc_u32_e32 v10, v2, v9
	s_cbranch_vccnz .LBB49_17
; %bb.4:                                ;   in Loop: Header=BB49_3 Depth=1
	s_delay_alu instid0(VALU_DEP_1) | instskip(NEXT) | instid1(VALU_DEP_3)
	v_mul_lo_u32 v1, v10, s13
	v_mul_lo_u32 v2, v8, s14
	;; [unrolled: 1-line block ×3, first 2 shown]
	v_mov_b64_e32 v[4:5], 0
	s_mov_b32 s2, 0
	s_mov_b64 s[56:57], s[22:23]
	s_delay_alu instid0(VALU_DEP_4) | instskip(NEXT) | instid1(VALU_DEP_4)
	v_subrev_nc_u32_e32 v1, s19, v1
	v_subrev_nc_u32_e32 v7, s28, v2
	s_delay_alu instid0(VALU_DEP_4)
	v_subrev_nc_u32_e32 v9, s29, v9
	s_branch .LBB49_6
.LBB49_5:                               ;   in Loop: Header=BB49_6 Depth=2
	s_add_co_i32 s2, s2, 1
	s_add_nc_u64 s[56:57], s[56:57], s[54:55]
	s_cmp_eq_u32 s2, s9
	s_cbranch_scc1 .LBB49_18
.LBB49_6:                               ;   Parent Loop BB49_3 Depth=1
                                        ; =>  This Loop Header: Depth=2
                                        ;       Child Loop BB49_9 Depth 3
                                        ;         Child Loop BB49_12 Depth 4
                                        ;           Child Loop BB49_15 Depth 5
	s_and_not1_b32 vcc_lo, exec_lo, s72
	s_cbranch_vccnz .LBB49_5
; %bb.7:                                ;   in Loop: Header=BB49_6 Depth=2
	s_mul_u64 s[58:59], s[42:43], s[2:3]
	s_mov_b32 s82, 0
	s_lshl_b64 s[58:59], s[58:59], 2
	s_mov_b64 s[66:67], s[56:57]
	s_add_nc_u64 s[58:59], s[10:11], s[58:59]
	s_branch .LBB49_9
.LBB49_8:                               ;   in Loop: Header=BB49_9 Depth=3
	s_add_co_i32 s82, s82, 1
	s_add_nc_u64 s[66:67], s[66:67], s[52:53]
	s_cmp_eq_u32 s82, s30
	s_cbranch_scc1 .LBB49_5
.LBB49_9:                               ;   Parent Loop BB49_3 Depth=1
                                        ;     Parent Loop BB49_6 Depth=2
                                        ; =>    This Loop Header: Depth=3
                                        ;         Child Loop BB49_12 Depth 4
                                        ;           Child Loop BB49_15 Depth 5
	s_and_not1_b32 vcc_lo, exec_lo, s73
	s_cbranch_vccnz .LBB49_8
; %bb.10:                               ;   in Loop: Header=BB49_9 Depth=3
	v_mad_u32 v2, s82, s16, v1
	s_mov_b32 s83, 0
	s_mov_b64 s[68:69], s[66:67]
	s_delay_alu instid0(VALU_DEP_1)
	v_mul_u64_e32 v[12:13], s[40:41], v[2:3]
	v_cmp_gt_i32_e32 vcc_lo, 0, v2
	v_cmp_le_i32_e64 s0, s4, v2
	s_or_b32 s84, vcc_lo, s0
	v_lshl_add_u64 v[12:13], v[12:13], 2, s[58:59]
	s_branch .LBB49_12
.LBB49_11:                              ;   in Loop: Header=BB49_12 Depth=4
	s_add_co_i32 s83, s83, 1
	s_add_nc_u64 s[68:69], s[68:69], s[50:51]
	s_cmp_eq_u32 s83, s31
	s_cbranch_scc1 .LBB49_8
.LBB49_12:                              ;   Parent Loop BB49_3 Depth=1
                                        ;     Parent Loop BB49_6 Depth=2
                                        ;       Parent Loop BB49_9 Depth=3
                                        ; =>      This Loop Header: Depth=4
                                        ;           Child Loop BB49_15 Depth 5
	s_and_not1_b32 vcc_lo, exec_lo, s1
	s_cbranch_vccnz .LBB49_11
; %bb.13:                               ;   in Loop: Header=BB49_12 Depth=4
	v_mad_u32 v2, s83, s17, v7
	s_mov_b64 s[70:71], s[68:69]
	s_mov_b32 s86, s8
	s_delay_alu instid0(VALU_DEP_1) | instskip(SKIP_4) | instid1(SALU_CYCLE_1)
	v_mul_u64_e32 v[14:15], s[38:39], v[2:3]
	v_cmp_gt_i32_e32 vcc_lo, 0, v2
	v_cmp_le_i32_e64 s0, s5, v2
	v_mov_b32_e32 v2, v9
	s_or_b32 s0, vcc_lo, s0
	s_or_b32 s85, s84, s0
	v_lshl_add_u64 v[14:15], v[14:15], 2, v[12:13]
	s_branch .LBB49_15
.LBB49_14:                              ;   in Loop: Header=BB49_15 Depth=5
	s_or_b32 exec_lo, exec_lo, s0
	v_add_nc_u32_e32 v2, s18, v2
	s_add_co_i32 s86, s86, -1
	s_add_nc_u64 s[70:71], s[70:71], s[48:49]
	s_cmp_eq_u32 s86, 0
	s_cbranch_scc1 .LBB49_11
.LBB49_15:                              ;   Parent Loop BB49_3 Depth=1
                                        ;     Parent Loop BB49_6 Depth=2
                                        ;       Parent Loop BB49_9 Depth=3
                                        ;         Parent Loop BB49_12 Depth=4
                                        ; =>        This Inner Loop Header: Depth=5
	v_cmp_gt_i32_e32 vcc_lo, 0, v2
	v_cmp_le_i32_e64 s0, s6, v2
	s_or_b32 s0, vcc_lo, s0
	s_delay_alu instid0(SALU_CYCLE_1) | instskip(NEXT) | instid1(SALU_CYCLE_1)
	s_nor_b32 s87, s85, s0
	s_and_saveexec_b32 s0, s87
	s_cbranch_execz .LBB49_14
; %bb.16:                               ;   in Loop: Header=BB49_15 Depth=5
	v_mul_u64_e32 v[16:17], s[36:37], v[2:3]
	s_load_b32 s87, s[70:71], 0x0
	s_wait_kmcnt 0x0
	v_cvt_f64_f32_e32 v[18:19], s87
	s_delay_alu instid0(VALU_DEP_2) | instskip(SKIP_4) | instid1(VALU_DEP_1)
	v_lshl_add_u64 v[16:17], v[16:17], 2, v[14:15]
	global_load_b32 v11, v[16:17], off
	s_wait_loadcnt 0x0
	s_wait_xcnt 0x0
	v_cvt_f64_f32_e32 v[16:17], v11
	v_fmac_f64_e32 v[4:5], v[16:17], v[18:19]
	s_branch .LBB49_14
.LBB49_17:                              ;   in Loop: Header=BB49_3 Depth=1
	v_mov_b64_e32 v[4:5], 0
.LBB49_18:                              ;   in Loop: Header=BB49_3 Depth=1
	s_delay_alu instid0(VALU_DEP_2) | instskip(SKIP_2) | instid1(VALU_DEP_2)
	v_dual_ashrrev_i32 v11, 31, v10 :: v_dual_ashrrev_i32 v9, 31, v8
	v_ashrrev_i32_e32 v7, 31, v6
	s_and_not1_b32 vcc_lo, exec_lo, s80
	v_mul_u64_e32 v[10:11], s[64:65], v[10:11]
	s_delay_alu instid0(VALU_DEP_3) | instskip(NEXT) | instid1(VALU_DEP_3)
	v_mul_u64_e32 v[8:9], s[62:63], v[8:9]
	v_mul_u64_e32 v[6:7], s[60:61], v[6:7]
	s_delay_alu instid0(VALU_DEP_3) | instskip(NEXT) | instid1(VALU_DEP_1)
	v_lshl_add_u64 v[10:11], v[10:11], 2, s[20:21]
	v_lshl_add_u64 v[8:9], v[8:9], 2, v[10:11]
	s_delay_alu instid0(VALU_DEP_1)
	v_lshl_add_u64 v[6:7], v[6:7], 2, v[8:9]
	s_cbranch_vccnz .LBB49_2
; %bb.19:                               ;   in Loop: Header=BB49_3 Depth=1
	global_load_b32 v1, v[6:7], off
	s_wait_loadcnt 0x0
	v_cvt_f64_f32_e32 v[8:9], v1
	s_delay_alu instid0(VALU_DEP_1) | instskip(NEXT) | instid1(VALU_DEP_1)
	v_mul_f64_e32 v[8:9], s[26:27], v[8:9]
	v_fmac_f64_e32 v[8:9], s[24:25], v[4:5]
	s_delay_alu instid0(VALU_DEP_1)
	v_mov_b64_e32 v[4:5], v[8:9]
	s_branch .LBB49_2
.LBB49_20:
	s_endpgm
	.section	.rodata,"a",@progbits
	.p2align	6, 0x0
	.amdhsa_kernel naive_conv_ab_nonpacked_fwd_ncdhw_float_double_float
		.amdhsa_group_segment_fixed_size 0
		.amdhsa_private_segment_fixed_size 0
		.amdhsa_kernarg_size 528
		.amdhsa_user_sgpr_count 2
		.amdhsa_user_sgpr_dispatch_ptr 0
		.amdhsa_user_sgpr_queue_ptr 0
		.amdhsa_user_sgpr_kernarg_segment_ptr 1
		.amdhsa_user_sgpr_dispatch_id 0
		.amdhsa_user_sgpr_kernarg_preload_length 0
		.amdhsa_user_sgpr_kernarg_preload_offset 0
		.amdhsa_user_sgpr_private_segment_size 0
		.amdhsa_wavefront_size32 1
		.amdhsa_uses_dynamic_stack 0
		.amdhsa_enable_private_segment 0
		.amdhsa_system_sgpr_workgroup_id_x 1
		.amdhsa_system_sgpr_workgroup_id_y 0
		.amdhsa_system_sgpr_workgroup_id_z 0
		.amdhsa_system_sgpr_workgroup_info 0
		.amdhsa_system_vgpr_workitem_id 0
		.amdhsa_next_free_vgpr 20
		.amdhsa_next_free_sgpr 88
		.amdhsa_named_barrier_count 0
		.amdhsa_reserve_vcc 1
		.amdhsa_float_round_mode_32 0
		.amdhsa_float_round_mode_16_64 0
		.amdhsa_float_denorm_mode_32 3
		.amdhsa_float_denorm_mode_16_64 3
		.amdhsa_fp16_overflow 0
		.amdhsa_memory_ordered 1
		.amdhsa_forward_progress 1
		.amdhsa_inst_pref_size 14
		.amdhsa_round_robin_scheduling 0
		.amdhsa_exception_fp_ieee_invalid_op 0
		.amdhsa_exception_fp_denorm_src 0
		.amdhsa_exception_fp_ieee_div_zero 0
		.amdhsa_exception_fp_ieee_overflow 0
		.amdhsa_exception_fp_ieee_underflow 0
		.amdhsa_exception_fp_ieee_inexact 0
		.amdhsa_exception_int_div_zero 0
	.end_amdhsa_kernel
	.text
.Lfunc_end49:
	.size	naive_conv_ab_nonpacked_fwd_ncdhw_float_double_float, .Lfunc_end49-naive_conv_ab_nonpacked_fwd_ncdhw_float_double_float
                                        ; -- End function
	.set naive_conv_ab_nonpacked_fwd_ncdhw_float_double_float.num_vgpr, 20
	.set naive_conv_ab_nonpacked_fwd_ncdhw_float_double_float.num_agpr, 0
	.set naive_conv_ab_nonpacked_fwd_ncdhw_float_double_float.numbered_sgpr, 88
	.set naive_conv_ab_nonpacked_fwd_ncdhw_float_double_float.num_named_barrier, 0
	.set naive_conv_ab_nonpacked_fwd_ncdhw_float_double_float.private_seg_size, 0
	.set naive_conv_ab_nonpacked_fwd_ncdhw_float_double_float.uses_vcc, 1
	.set naive_conv_ab_nonpacked_fwd_ncdhw_float_double_float.uses_flat_scratch, 0
	.set naive_conv_ab_nonpacked_fwd_ncdhw_float_double_float.has_dyn_sized_stack, 0
	.set naive_conv_ab_nonpacked_fwd_ncdhw_float_double_float.has_recursion, 0
	.set naive_conv_ab_nonpacked_fwd_ncdhw_float_double_float.has_indirect_call, 0
	.section	.AMDGPU.csdata,"",@progbits
; Kernel info:
; codeLenInByte = 1728
; TotalNumSgprs: 90
; NumVgprs: 20
; ScratchSize: 0
; MemoryBound: 0
; FloatMode: 240
; IeeeMode: 1
; LDSByteSize: 0 bytes/workgroup (compile time only)
; SGPRBlocks: 0
; VGPRBlocks: 1
; NumSGPRsForWavesPerEU: 90
; NumVGPRsForWavesPerEU: 20
; NamedBarCnt: 0
; Occupancy: 16
; WaveLimiterHint : 1
; COMPUTE_PGM_RSRC2:SCRATCH_EN: 0
; COMPUTE_PGM_RSRC2:USER_SGPR: 2
; COMPUTE_PGM_RSRC2:TRAP_HANDLER: 0
; COMPUTE_PGM_RSRC2:TGID_X_EN: 1
; COMPUTE_PGM_RSRC2:TGID_Y_EN: 0
; COMPUTE_PGM_RSRC2:TGID_Z_EN: 0
; COMPUTE_PGM_RSRC2:TIDIG_COMP_CNT: 0
	.text
	.protected	naive_conv_ab_packed_fwd_ncdhw_half_double_half ; -- Begin function naive_conv_ab_packed_fwd_ncdhw_half_double_half
	.globl	naive_conv_ab_packed_fwd_ncdhw_half_double_half
	.p2align	8
	.type	naive_conv_ab_packed_fwd_ncdhw_half_double_half,@function
naive_conv_ab_packed_fwd_ncdhw_half_double_half: ; @naive_conv_ab_packed_fwd_ncdhw_half_double_half
; %bb.0:
	s_load_b512 s[4:19], s[0:1], 0xb8
	s_bfe_u32 s2, ttmp6, 0x4000c
	s_and_b32 s3, ttmp6, 15
	s_add_co_i32 s2, s2, 1
	s_getreg_b32 s20, hwreg(HW_REG_IB_STS2, 6, 4)
	s_mul_i32 s2, ttmp9, s2
	s_mov_b32 s26, exec_lo
	s_add_co_i32 s3, s3, s2
	s_cmp_eq_u32 s20, 0
	s_cselect_b32 s20, ttmp9, s3
	s_wait_kmcnt 0x0
	s_abs_i32 s3, s8
	s_mul_i32 s48, s12, s11
	s_cvt_f32_u32 s2, s3
	s_mul_i32 s33, s48, s10
	s_delay_alu instid0(SALU_CYCLE_2) | instskip(SKIP_1) | instid1(TRANS32_DEP_1)
	v_rcp_iflag_f32_e32 v1, s2
	v_nop
	v_readfirstlane_b32 s2, v1
	s_mul_f32 s2, s2, 0x4f7ffffe
	s_delay_alu instid0(SALU_CYCLE_3) | instskip(SKIP_1) | instid1(SALU_CYCLE_2)
	s_cvt_u32_f32 s21, s2
	s_sub_co_i32 s2, 0, s3
	s_mul_i32 s2, s2, s21
	s_delay_alu instid0(SALU_CYCLE_1) | instskip(SKIP_2) | instid1(SALU_CYCLE_1)
	s_mul_hi_u32 s22, s21, s2
	s_abs_i32 s2, s20
	s_add_co_i32 s21, s21, s22
	s_mul_hi_u32 s21, s2, s21
	s_delay_alu instid0(SALU_CYCLE_1) | instskip(SKIP_2) | instid1(SALU_CYCLE_1)
	s_mul_i32 s22, s21, s3
	s_add_co_i32 s23, s21, 1
	s_sub_co_i32 s22, s2, s22
	s_sub_co_i32 s24, s22, s3
	s_cmp_ge_u32 s22, s3
	s_cselect_b32 s21, s23, s21
	s_cselect_b32 s22, s24, s22
	s_add_co_i32 s23, s21, 1
	s_cmp_ge_u32 s22, s3
	s_mul_i32 s22, s8, s7
	s_cselect_b32 s24, s23, s21
	s_abs_i32 s21, s7
	s_abs_i32 s7, s22
	s_cvt_f32_u32 s3, s21
	s_cvt_f32_u32 s23, s7
	s_delay_alu instid0(SALU_CYCLE_2) | instskip(NEXT) | instid1(SALU_CYCLE_2)
	v_rcp_iflag_f32_e32 v1, s3
	v_rcp_iflag_f32_e32 v2, s23
	s_mov_b32 s3, 0
	s_delay_alu instid0(TRANS32_DEP_2) | instskip(NEXT) | instid1(TRANS32_DEP_1)
	v_readfirstlane_b32 s25, v1
	v_readfirstlane_b32 s23, v2
	v_cmpx_gt_i32_e64 s33, v0
	s_cbranch_execz .LBB50_22
; %bb.1:
	s_ashr_i32 s30, s20, 31
	s_ashr_i32 s41, s8, 31
	s_mul_f32 s25, s25, 0x4f7ffffe
	s_xor_b32 s26, s30, s41
	s_mul_f32 s23, s23, 0x4f7ffffe
	s_xor_b32 s24, s24, s26
	s_cvt_u32_f32 s25, s25
	s_sub_co_i32 s28, s24, s26
	s_sub_co_i32 s24, 0, s21
	s_cvt_u32_f32 s23, s23
	s_mul_i32 s24, s24, s25
	s_sub_co_i32 s29, 0, s7
	s_mul_hi_u32 s26, s25, s24
	s_abs_i32 s24, s28
	s_add_co_i32 s26, s25, s26
	s_mov_b32 s25, s3
	s_mov_b32 s27, s3
	s_mul_i32 s29, s29, s23
	s_mul_u64 s[26:27], s[24:25], s[26:27]
	s_mul_hi_u32 s25, s23, s29
	s_ashr_i32 s26, s22, 31
	s_add_co_i32 s22, s23, s25
	s_mul_i32 s23, s27, s21
	s_ashr_i32 s31, s28, 31
	s_mul_i32 s28, s28, s8
	s_sub_co_i32 s23, s24, s23
	s_sub_co_i32 s42, s20, s28
	s_sub_co_i32 s20, s23, s21
	s_cmp_ge_u32 s23, s21
	s_clause 0x1
	s_load_b64 s[34:35], s[0:1], 0x108
	s_load_b32 s49, s[0:1], 0x11c
	s_cselect_b32 s20, s20, s23
	s_mov_b32 s40, s8
	s_sub_co_i32 s23, s20, s21
	s_cmp_ge_u32 s20, s21
	v_mov_b32_e32 v3, 0
	s_cselect_b32 s20, s23, s20
	s_mov_b32 s23, s3
	s_xor_b32 s20, s20, s31
	s_mul_u64 s[28:29], s[2:3], s[22:23]
	s_sub_co_i32 s44, s20, s31
	s_mul_i32 s20, s29, s7
	s_xor_b32 s38, s30, s26
	s_sub_co_i32 s2, s2, s20
	s_add_co_i32 s28, s29, 1
	s_sub_co_i32 s30, s2, s7
	s_cmp_ge_u32 s2, s7
	s_load_b256 s[20:27], s[0:1], 0x0
	s_cselect_b32 s36, s28, s29
	s_cselect_b32 s2, s30, s2
	s_add_co_i32 s37, s36, 1
	s_cmp_ge_u32 s2, s7
	s_load_b128 s[28:31], s[0:1], 0xf8
	s_cselect_b32 s2, s37, s36
	s_wait_kmcnt 0x0
	s_mul_i32 s36, s35, s9
	s_xor_b32 s2, s2, s38
	s_ashr_i32 s45, s44, 31
	s_ashr_i32 s37, s36, 31
	s_sub_co_i32 s46, s2, s38
	s_mul_u64 s[50:51], s[44:45], s[36:37]
	s_ashr_i32 s37, s4, 31
	s_mov_b32 s36, s4
	s_ashr_i32 s39, s5, 31
	s_mov_b32 s38, s5
	s_ashr_i32 s47, s46, 31
	s_ashr_i32 s5, s9, 31
	s_mov_b32 s4, s9
	s_ashr_i32 s7, s6, 31
	s_mul_u64 s[52:53], s[46:47], s[4:5]
	s_mul_u64 s[54:55], s[38:39], s[36:37]
	s_add_nc_u64 s[50:51], s[52:53], s[50:51]
	s_mul_u64 s[52:53], s[54:55], s[6:7]
	s_mul_i32 s54, s35, s8
	s_mul_u64 s[46:47], s[46:47], s[40:41]
	s_ashr_i32 s43, s42, 31
	s_ashr_i32 s55, s54, 31
	s_mul_u64 s[50:51], s[52:53], s[50:51]
	s_add_nc_u64 s[52:53], s[46:47], s[42:43]
	s_mul_u64 s[46:47], s[44:45], s[54:55]
	s_ashr_i32 s55, s10, 31
	s_mov_b32 s54, s10
	s_ashr_i32 s43, s11, 31
	s_mov_b32 s42, s11
	;; [unrolled: 2-line block ×3, first 2 shown]
	s_mul_u64 s[54:55], s[42:43], s[54:55]
	s_add_nc_u64 s[56:57], s[52:53], s[46:47]
	s_mul_u64 s[54:55], s[54:55], s[44:45]
	s_lshl_b64 s[50:51], s[50:51], 1
	s_mul_u64 s[54:55], s[54:55], s[56:57]
	s_ashr_i32 s35, s34, 31
	s_lshl_b64 s[54:55], s[54:55], 1
	s_load_b64 s[56:57], s[0:1], 0x20
	s_ashr_i32 s41, s30, 31
	s_ashr_i32 s47, s31, 31
	s_cmp_gt_i32 s9, 0
	v_cmp_neq_f64_e64 s2, s[24:25], 1.0
	s_cselect_b32 s43, -1, 0
	s_cmp_gt_i32 s30, 0
	v_cmp_neq_f64_e64 s58, s[26:27], 0
	s_cselect_b32 s66, -1, 0
	s_cmp_gt_i32 s31, 0
	s_add_nc_u64 s[8:9], s[20:21], s[50:51]
	s_cselect_b32 s67, -1, 0
	s_cmp_gt_i32 s34, 0
	s_mov_b32 s46, s31
	s_wait_xcnt 0x0
	s_cselect_b32 s1, -1, 0
	s_abs_i32 s12, s12
	s_abs_i32 s68, s11
	s_cvt_f32_u32 s0, s12
	s_abs_i32 s69, s48
	s_mov_b32 s40, s30
	s_cvt_f32_u32 s21, s69
	v_rcp_iflag_f32_e32 v1, s0
	s_cvt_f32_u32 s0, s68
	s_wait_kmcnt 0x0
	s_add_nc_u64 s[10:11], s[56:57], s[54:55]
	s_mul_u64 s[54:55], s[34:35], s[46:47]
	s_and_b32 s71, s49, 0xffff
	s_mul_u64 s[50:51], s[54:55], s[40:41]
	s_ashr_i32 s72, s48, 31
	v_nop
	v_readfirstlane_b32 s59, v1
	v_rcp_iflag_f32_e32 v1, s0
	s_mul_u64 s[48:49], s[50:51], s[52:53]
	s_lshl_b64 s[50:51], s[50:51], 1
	s_mul_u64 s[52:53], s[48:49], s[4:5]
	s_mul_f32 s0, s59, 0x4f7ffffe
	s_lshl_b64 s[52:53], s[52:53], 1
	s_mov_b32 s49, s3
	v_nop
	v_readfirstlane_b32 s20, v1
	v_rcp_iflag_f32_e32 v1, s21
	s_cvt_u32_f32 s0, s0
	s_or_b32 s70, s2, s58
	s_sub_co_i32 s2, 0, s12
	s_mul_f32 s20, s20, 0x4f7ffffe
	s_mul_i32 s2, s2, s0
	s_sub_co_i32 s21, 0, s68
	v_nop
	v_readfirstlane_b32 s31, v1
	s_cvt_u32_f32 s30, s20
	s_mul_hi_u32 s2, s0, s2
	v_mov_b32_e32 v1, 0x7e00
	s_add_co_i32 s20, s0, s2
	s_mul_i32 s0, s21, s30
	s_mul_f32 s2, s31, 0x4f7ffffe
	s_mul_hi_u32 s0, s30, s0
	s_mov_b32 s21, s3
	s_add_co_i32 s30, s30, s0
	s_cvt_u32_f32 s0, s2
	s_sub_co_i32 s2, 0, s69
	s_mov_b32 s31, s3
	s_add_nc_u64 s[22:23], s[22:23], s[52:53]
	s_mul_i32 s2, s2, s0
	s_lshl_b64 s[52:53], s[54:55], 1
	s_mul_hi_u32 s2, s0, s2
	s_lshl_b64 s[54:55], s[34:35], 1
	s_add_co_i32 s48, s0, s2
	s_mov_b32 s5, 0
	s_branch .LBB50_3
.LBB50_2:                               ;   in Loop: Header=BB50_3 Depth=1
	v_add_nc_u32_e32 v0, s71, v0
	s_delay_alu instid0(VALU_DEP_1)
	v_cmp_le_i32_e32 vcc_lo, s33, v0
	s_or_b32 s5, vcc_lo, s5
	s_wait_xcnt 0x0
	s_and_not1_b32 exec_lo, exec_lo, s5
	s_cbranch_execz .LBB50_22
.LBB50_3:                               ; =>This Loop Header: Depth=1
                                        ;     Child Loop BB50_6 Depth 2
                                        ;       Child Loop BB50_9 Depth 3
                                        ;         Child Loop BB50_12 Depth 4
                                        ;           Child Loop BB50_15 Depth 5
	v_dual_sub_nc_u32 v2, 0, v0 :: v_dual_ashrrev_i32 v10, 31, v0
	s_delay_alu instid0(VALU_DEP_1) | instskip(NEXT) | instid1(VALU_DEP_1)
	v_max_i32_e32 v2, v0, v2
	v_mul_u64_e32 v[4:5], s[20:21], v[2:3]
	v_mul_u64_e32 v[8:9], s[48:49], v[2:3]
	s_delay_alu instid0(VALU_DEP_2) | instskip(NEXT) | instid1(VALU_DEP_1)
	v_mul_lo_u32 v4, v5, s12
	v_dual_add_nc_u32 v6, 1, v5 :: v_dual_sub_nc_u32 v4, v2, v4
	s_delay_alu instid0(VALU_DEP_1) | instskip(NEXT) | instid1(VALU_DEP_2)
	v_cmp_le_u32_e32 vcc_lo, s12, v4
	v_cndmask_b32_e32 v5, v5, v6, vcc_lo
	v_subrev_nc_u32_e32 v7, s12, v4
	s_delay_alu instid0(VALU_DEP_1) | instskip(SKIP_1) | instid1(VALU_DEP_2)
	v_dual_add_nc_u32 v6, 1, v5 :: v_dual_cndmask_b32 v4, v4, v7, vcc_lo
	v_xor_b32_e32 v7, s45, v10
	v_cmp_le_u32_e32 vcc_lo, s12, v4
	s_delay_alu instid0(VALU_DEP_3) | instskip(NEXT) | instid1(VALU_DEP_1)
	v_dual_cndmask_b32 v4, v5, v6 :: v_dual_mov_b32 v5, v3
	v_xor_b32_e32 v4, v4, v7
	s_delay_alu instid0(VALU_DEP_1) | instskip(NEXT) | instid1(VALU_DEP_1)
	v_sub_nc_u32_e32 v11, v4, v7
	v_sub_nc_u32_e32 v4, 0, v11
	s_delay_alu instid0(VALU_DEP_1) | instskip(NEXT) | instid1(VALU_DEP_1)
	v_max_i32_e32 v4, v11, v4
	v_mul_u64_e32 v[6:7], s[30:31], v[4:5]
	v_mul_lo_u32 v6, v9, s69
	s_delay_alu instid0(VALU_DEP_1) | instskip(NEXT) | instid1(VALU_DEP_1)
	v_dual_sub_nc_u32 v2, v2, v6 :: v_dual_add_nc_u32 v6, 1, v9
	v_cmp_le_u32_e32 vcc_lo, s69, v2
	s_delay_alu instid0(VALU_DEP_4) | instskip(SKIP_1) | instid1(VALU_DEP_1)
	v_mul_lo_u32 v5, v7, s68
	v_subrev_nc_u32_e32 v7, s69, v2
	v_dual_cndmask_b32 v2, v2, v7, vcc_lo :: v_dual_sub_nc_u32 v4, v4, v5
	v_mul_lo_u32 v8, v11, s44
	s_delay_alu instid0(VALU_DEP_2) | instskip(SKIP_1) | instid1(VALU_DEP_1)
	v_subrev_nc_u32_e32 v5, s68, v4
	v_cmp_le_u32_e64 s0, s68, v4
	v_dual_cndmask_b32 v4, v4, v5, s0 :: v_dual_cndmask_b32 v5, v9, v6, vcc_lo
	v_dual_ashrrev_i32 v10, 31, v11 :: v_dual_bitop2_b32 v9, s72, v10 bitop3:0x14
	s_delay_alu instid0(VALU_DEP_2) | instskip(SKIP_1) | instid1(VALU_DEP_2)
	v_subrev_nc_u32_e32 v6, s68, v4
	v_cmp_le_u32_e32 vcc_lo, s68, v4
	v_dual_cndmask_b32 v4, v4, v6 :: v_dual_add_nc_u32 v7, 1, v5
	v_cmp_le_u32_e32 vcc_lo, s69, v2
	s_delay_alu instid0(VALU_DEP_2) | instskip(SKIP_1) | instid1(VALU_DEP_1)
	v_dual_sub_nc_u32 v6, v0, v8 :: v_dual_cndmask_b32 v2, v5, v7, vcc_lo
	s_and_not1_b32 vcc_lo, exec_lo, s43
	v_xor_b32_e32 v2, v2, v9
	s_delay_alu instid0(VALU_DEP_1) | instskip(NEXT) | instid1(VALU_DEP_1)
	v_dual_sub_nc_u32 v7, v2, v9 :: v_dual_bitop2_b32 v4, v4, v10 bitop3:0x14
	v_sub_nc_u32_e32 v8, v4, v10
	s_cbranch_vccnz .LBB50_17
; %bb.4:                                ;   in Loop: Header=BB50_3 Depth=1
	s_delay_alu instid0(VALU_DEP_2) | instskip(NEXT) | instid1(VALU_DEP_2)
	v_mul_lo_u32 v2, v7, s13
	v_mul_lo_u32 v10, v8, s14
	;; [unrolled: 1-line block ×3, first 2 shown]
	v_mov_b64_e32 v[4:5], 0
	s_mov_b32 s2, 0
	s_mov_b64 s[56:57], s[22:23]
	s_delay_alu instid0(VALU_DEP_4) | instskip(NEXT) | instid1(VALU_DEP_4)
	v_subrev_nc_u32_e32 v9, s19, v2
	v_subrev_nc_u32_e32 v14, s28, v10
	s_delay_alu instid0(VALU_DEP_4)
	v_subrev_nc_u32_e32 v15, s29, v11
	s_branch .LBB50_6
.LBB50_5:                               ;   in Loop: Header=BB50_6 Depth=2
	s_add_co_i32 s2, s2, 1
	s_add_nc_u64 s[56:57], s[56:57], s[50:51]
	s_cmp_eq_u32 s2, s4
	s_cbranch_scc1 .LBB50_18
.LBB50_6:                               ;   Parent Loop BB50_3 Depth=1
                                        ; =>  This Loop Header: Depth=2
                                        ;       Child Loop BB50_9 Depth 3
                                        ;         Child Loop BB50_12 Depth 4
                                        ;           Child Loop BB50_15 Depth 5
	s_and_not1_b32 vcc_lo, exec_lo, s66
	s_cbranch_vccnz .LBB50_5
; %bb.7:                                ;   in Loop: Header=BB50_6 Depth=2
	s_mul_u64 s[58:59], s[2:3], s[36:37]
	s_mov_b32 s35, 0
	s_mov_b64 s[60:61], s[56:57]
	s_branch .LBB50_9
.LBB50_8:                               ;   in Loop: Header=BB50_9 Depth=3
	s_add_co_i32 s35, s35, 1
	s_add_nc_u64 s[60:61], s[60:61], s[52:53]
	s_cmp_eq_u32 s35, s40
	s_cbranch_scc1 .LBB50_5
.LBB50_9:                               ;   Parent Loop BB50_3 Depth=1
                                        ;     Parent Loop BB50_6 Depth=2
                                        ; =>    This Loop Header: Depth=3
                                        ;         Child Loop BB50_12 Depth 4
                                        ;           Child Loop BB50_15 Depth 5
	s_and_not1_b32 vcc_lo, exec_lo, s67
	s_cbranch_vccnz .LBB50_8
; %bb.10:                               ;   in Loop: Header=BB50_9 Depth=3
	v_mad_u32 v2, s35, s16, v9
	s_mov_b32 s41, 0
	s_mov_b64 s[62:63], s[60:61]
	s_delay_alu instid0(VALU_DEP_1)
	v_add_nc_u64_e32 v[10:11], s[58:59], v[2:3]
	v_cmp_gt_i32_e32 vcc_lo, 0, v2
	v_cmp_le_i32_e64 s0, s36, v2
	s_or_b32 s47, vcc_lo, s0
	v_mul_u64_e32 v[10:11], s[38:39], v[10:11]
	s_branch .LBB50_12
.LBB50_11:                              ;   in Loop: Header=BB50_12 Depth=4
	s_add_co_i32 s41, s41, 1
	s_add_nc_u64 s[62:63], s[62:63], s[54:55]
	s_cmp_eq_u32 s41, s46
	s_cbranch_scc1 .LBB50_8
.LBB50_12:                              ;   Parent Loop BB50_3 Depth=1
                                        ;     Parent Loop BB50_6 Depth=2
                                        ;       Parent Loop BB50_9 Depth=3
                                        ; =>      This Loop Header: Depth=4
                                        ;           Child Loop BB50_15 Depth 5
	s_and_not1_b32 vcc_lo, exec_lo, s1
	s_cbranch_vccnz .LBB50_11
; %bb.13:                               ;   in Loop: Header=BB50_12 Depth=4
	v_mad_u32 v2, s41, s17, v14
	s_mov_b64 s[64:65], s[62:63]
	s_mov_b32 s74, s34
	s_delay_alu instid0(VALU_DEP_1)
	v_add_nc_u64_e32 v[12:13], v[10:11], v[2:3]
	v_cmp_gt_i32_e32 vcc_lo, 0, v2
	v_cmp_le_i32_e64 s0, s38, v2
	v_mov_b32_e32 v2, v15
	s_or_b32 s0, vcc_lo, s0
	v_mul_u64_e32 v[12:13], s[6:7], v[12:13]
	s_or_b32 s73, s47, s0
	s_delay_alu instid0(VALU_DEP_1)
	v_lshl_add_u64 v[12:13], v[12:13], 1, s[8:9]
	s_branch .LBB50_15
.LBB50_14:                              ;   in Loop: Header=BB50_15 Depth=5
	s_wait_xcnt 0x0
	s_or_b32 exec_lo, exec_lo, s0
	v_add_nc_u32_e32 v2, s18, v2
	s_add_co_i32 s74, s74, -1
	s_add_nc_u64 s[64:65], s[64:65], 2
	s_cmp_eq_u32 s74, 0
	s_cbranch_scc1 .LBB50_11
.LBB50_15:                              ;   Parent Loop BB50_3 Depth=1
                                        ;     Parent Loop BB50_6 Depth=2
                                        ;       Parent Loop BB50_9 Depth=3
                                        ;         Parent Loop BB50_12 Depth=4
                                        ; =>        This Inner Loop Header: Depth=5
	v_cmp_gt_i32_e32 vcc_lo, 0, v2
	v_cmp_le_i32_e64 s0, s6, v2
	s_or_b32 s0, vcc_lo, s0
	s_delay_alu instid0(SALU_CYCLE_1) | instskip(NEXT) | instid1(SALU_CYCLE_1)
	s_nor_b32 s75, s73, s0
	s_and_saveexec_b32 s0, s75
	s_cbranch_execz .LBB50_14
; %bb.16:                               ;   in Loop: Header=BB50_15 Depth=5
	v_lshl_add_u64 v[16:17], v[2:3], 1, v[12:13]
	global_load_u16 v16, v[16:17], off
	global_load_u16 v17, v3, s[64:65]
	s_wait_loadcnt 0x1
	v_cvt_f32_f16_e32 v16, v16
	s_wait_loadcnt 0x0
	v_cvt_f32_f16_e32 v18, v17
	s_delay_alu instid0(VALU_DEP_2) | instskip(NEXT) | instid1(VALU_DEP_2)
	v_cvt_f64_f32_e32 v[16:17], v16
	v_cvt_f64_f32_e32 v[18:19], v18
	s_delay_alu instid0(VALU_DEP_1)
	v_fmac_f64_e32 v[4:5], v[16:17], v[18:19]
	s_branch .LBB50_14
.LBB50_17:                              ;   in Loop: Header=BB50_3 Depth=1
	v_mov_b64_e32 v[4:5], 0
.LBB50_18:                              ;   in Loop: Header=BB50_3 Depth=1
	s_delay_alu instid0(VALU_DEP_2) | instskip(SKIP_2) | instid1(VALU_DEP_1)
	v_ashrrev_i32_e32 v9, 31, v8
	s_and_b32 vcc_lo, exec_lo, s70
	s_mov_b32 s0, -1
	v_mad_nc_i64_i32 v[8:9], v7, s42, v[8:9]
	v_ashrrev_i32_e32 v7, 31, v6
	s_delay_alu instid0(VALU_DEP_1) | instskip(NEXT) | instid1(VALU_DEP_1)
	v_mad_nc_u64_u32 v[6:7], v8, s44, v[6:7]
	v_mad_u32 v2, v9, s44, v7
	s_delay_alu instid0(VALU_DEP_1) | instskip(NEXT) | instid1(VALU_DEP_1)
	v_mad_u32 v7, v8, s45, v2
	v_lshl_add_u64 v[6:7], v[6:7], 1, s[10:11]
	s_cbranch_vccz .LBB50_20
; %bb.19:                               ;   in Loop: Header=BB50_3 Depth=1
	global_load_u16 v2, v[6:7], off
	s_mov_b32 s0, 0
	s_wait_loadcnt 0x0
	v_cvt_f32_f16_e32 v2, v2
	s_delay_alu instid0(VALU_DEP_1) | instskip(NEXT) | instid1(VALU_DEP_1)
	v_cvt_f64_f32_e32 v[8:9], v2
	v_mul_f64_e32 v[8:9], s[26:27], v[8:9]
	s_delay_alu instid0(VALU_DEP_1) | instskip(NEXT) | instid1(VALU_DEP_1)
	v_fmac_f64_e32 v[8:9], s[24:25], v[4:5]
	v_and_or_b32 v2, 0x1ff, v9, v8
	v_lshrrev_b32_e32 v8, 8, v9
	v_bfe_u32 v10, v9, 20, 11
	s_delay_alu instid0(VALU_DEP_3) | instskip(NEXT) | instid1(VALU_DEP_2)
	v_cmp_ne_u32_e32 vcc_lo, 0, v2
	v_sub_nc_u32_e32 v11, 0x3f1, v10
	v_add_nc_u32_e32 v10, 0xfffffc10, v10
	v_cndmask_b32_e64 v2, 0, 1, vcc_lo
	s_delay_alu instid0(VALU_DEP_1) | instskip(NEXT) | instid1(VALU_DEP_4)
	v_and_or_b32 v2, 0xffe, v8, v2
	v_med3_i32 v8, v11, 0, 13
	s_delay_alu instid0(VALU_DEP_2) | instskip(NEXT) | instid1(VALU_DEP_1)
	v_or_b32_e32 v11, 0x1000, v2
	v_lshrrev_b32_e32 v12, v8, v11
	s_delay_alu instid0(VALU_DEP_1) | instskip(NEXT) | instid1(VALU_DEP_1)
	v_lshlrev_b32_e32 v8, v8, v12
	v_cmp_ne_u32_e32 vcc_lo, v8, v11
	v_lshl_or_b32 v11, v10, 12, v2
	v_cndmask_b32_e64 v8, 0, 1, vcc_lo
	v_cmp_gt_i32_e32 vcc_lo, 1, v10
	s_delay_alu instid0(VALU_DEP_2) | instskip(NEXT) | instid1(VALU_DEP_1)
	v_or_b32_e32 v8, v12, v8
	v_cndmask_b32_e32 v8, v11, v8, vcc_lo
	s_delay_alu instid0(VALU_DEP_1) | instskip(NEXT) | instid1(VALU_DEP_1)
	v_dual_lshrrev_b32 v8, 2, v8 :: v_dual_bitop2_b32 v11, 7, v8 bitop3:0x40
	v_cmp_lt_i32_e32 vcc_lo, 5, v11
	v_cndmask_b32_e64 v12, 0, 1, vcc_lo
	v_cmp_eq_u32_e32 vcc_lo, 3, v11
	v_cndmask_b32_e64 v11, 0, 1, vcc_lo
	v_cmp_ne_u32_e32 vcc_lo, 0, v2
	s_delay_alu instid0(VALU_DEP_2) | instskip(SKIP_2) | instid1(VALU_DEP_3)
	v_or_b32_e32 v11, v11, v12
	v_cndmask_b32_e32 v2, 0x7c00, v1, vcc_lo
	v_cmp_gt_i32_e32 vcc_lo, 31, v10
	v_add_nc_u32_e32 v8, v8, v11
	s_delay_alu instid0(VALU_DEP_1) | instskip(SKIP_1) | instid1(VALU_DEP_2)
	v_cndmask_b32_e32 v8, 0x7c00, v8, vcc_lo
	v_cmp_eq_u32_e32 vcc_lo, 0x40f, v10
	v_dual_cndmask_b32 v2, v8, v2, vcc_lo :: v_dual_lshrrev_b32 v8, 16, v9
	s_delay_alu instid0(VALU_DEP_1)
	v_and_or_b32 v2, 0x8000, v8, v2
	global_store_b16 v[6:7], v2, off
.LBB50_20:                              ;   in Loop: Header=BB50_3 Depth=1
	s_and_not1_b32 vcc_lo, exec_lo, s0
	s_cbranch_vccnz .LBB50_2
; %bb.21:                               ;   in Loop: Header=BB50_3 Depth=1
	s_wait_xcnt 0x0
	v_and_or_b32 v2, 0x1ff, v5, v4
	v_lshrrev_b32_e32 v4, 8, v5
	v_bfe_u32 v8, v5, 20, 11
	s_delay_alu instid0(VALU_DEP_3) | instskip(NEXT) | instid1(VALU_DEP_2)
	v_cmp_ne_u32_e32 vcc_lo, 0, v2
	v_sub_nc_u32_e32 v9, 0x3f1, v8
	v_add_nc_u32_e32 v8, 0xfffffc10, v8
	v_cndmask_b32_e64 v2, 0, 1, vcc_lo
	s_delay_alu instid0(VALU_DEP_1) | instskip(NEXT) | instid1(VALU_DEP_4)
	v_and_or_b32 v2, 0xffe, v4, v2
	v_med3_i32 v4, v9, 0, 13
	s_delay_alu instid0(VALU_DEP_2) | instskip(NEXT) | instid1(VALU_DEP_1)
	v_or_b32_e32 v9, 0x1000, v2
	v_lshrrev_b32_e32 v10, v4, v9
	s_delay_alu instid0(VALU_DEP_1) | instskip(NEXT) | instid1(VALU_DEP_1)
	v_lshlrev_b32_e32 v4, v4, v10
	v_cmp_ne_u32_e32 vcc_lo, v4, v9
	v_lshl_or_b32 v9, v8, 12, v2
	v_cndmask_b32_e64 v4, 0, 1, vcc_lo
	v_cmp_gt_i32_e32 vcc_lo, 1, v8
	s_delay_alu instid0(VALU_DEP_2) | instskip(NEXT) | instid1(VALU_DEP_1)
	v_or_b32_e32 v4, v10, v4
	v_cndmask_b32_e32 v4, v9, v4, vcc_lo
	s_delay_alu instid0(VALU_DEP_1) | instskip(NEXT) | instid1(VALU_DEP_1)
	v_dual_lshrrev_b32 v4, 2, v4 :: v_dual_bitop2_b32 v9, 7, v4 bitop3:0x40
	v_cmp_lt_i32_e32 vcc_lo, 5, v9
	v_cndmask_b32_e64 v10, 0, 1, vcc_lo
	v_cmp_eq_u32_e32 vcc_lo, 3, v9
	v_cndmask_b32_e64 v9, 0, 1, vcc_lo
	v_cmp_ne_u32_e32 vcc_lo, 0, v2
	s_delay_alu instid0(VALU_DEP_2) | instskip(SKIP_2) | instid1(VALU_DEP_3)
	v_or_b32_e32 v9, v9, v10
	v_cndmask_b32_e32 v2, 0x7c00, v1, vcc_lo
	v_cmp_gt_i32_e32 vcc_lo, 31, v8
	v_add_nc_u32_e32 v4, v4, v9
	s_delay_alu instid0(VALU_DEP_1) | instskip(SKIP_1) | instid1(VALU_DEP_2)
	v_cndmask_b32_e32 v4, 0x7c00, v4, vcc_lo
	v_cmp_eq_u32_e32 vcc_lo, 0x40f, v8
	v_dual_cndmask_b32 v2, v4, v2, vcc_lo :: v_dual_lshrrev_b32 v4, 16, v5
	s_delay_alu instid0(VALU_DEP_1)
	v_and_or_b32 v2, 0x8000, v4, v2
	global_store_b16 v[6:7], v2, off
	s_branch .LBB50_2
.LBB50_22:
	s_endpgm
	.section	.rodata,"a",@progbits
	.p2align	6, 0x0
	.amdhsa_kernel naive_conv_ab_packed_fwd_ncdhw_half_double_half
		.amdhsa_group_segment_fixed_size 0
		.amdhsa_private_segment_fixed_size 0
		.amdhsa_kernarg_size 528
		.amdhsa_user_sgpr_count 2
		.amdhsa_user_sgpr_dispatch_ptr 0
		.amdhsa_user_sgpr_queue_ptr 0
		.amdhsa_user_sgpr_kernarg_segment_ptr 1
		.amdhsa_user_sgpr_dispatch_id 0
		.amdhsa_user_sgpr_kernarg_preload_length 0
		.amdhsa_user_sgpr_kernarg_preload_offset 0
		.amdhsa_user_sgpr_private_segment_size 0
		.amdhsa_wavefront_size32 1
		.amdhsa_uses_dynamic_stack 0
		.amdhsa_enable_private_segment 0
		.amdhsa_system_sgpr_workgroup_id_x 1
		.amdhsa_system_sgpr_workgroup_id_y 0
		.amdhsa_system_sgpr_workgroup_id_z 0
		.amdhsa_system_sgpr_workgroup_info 0
		.amdhsa_system_vgpr_workitem_id 0
		.amdhsa_next_free_vgpr 20
		.amdhsa_next_free_sgpr 76
		.amdhsa_named_barrier_count 0
		.amdhsa_reserve_vcc 1
		.amdhsa_float_round_mode_32 0
		.amdhsa_float_round_mode_16_64 0
		.amdhsa_float_denorm_mode_32 3
		.amdhsa_float_denorm_mode_16_64 3
		.amdhsa_fp16_overflow 0
		.amdhsa_memory_ordered 1
		.amdhsa_forward_progress 1
		.amdhsa_inst_pref_size 19
		.amdhsa_round_robin_scheduling 0
		.amdhsa_exception_fp_ieee_invalid_op 0
		.amdhsa_exception_fp_denorm_src 0
		.amdhsa_exception_fp_ieee_div_zero 0
		.amdhsa_exception_fp_ieee_overflow 0
		.amdhsa_exception_fp_ieee_underflow 0
		.amdhsa_exception_fp_ieee_inexact 0
		.amdhsa_exception_int_div_zero 0
	.end_amdhsa_kernel
	.text
.Lfunc_end50:
	.size	naive_conv_ab_packed_fwd_ncdhw_half_double_half, .Lfunc_end50-naive_conv_ab_packed_fwd_ncdhw_half_double_half
                                        ; -- End function
	.set naive_conv_ab_packed_fwd_ncdhw_half_double_half.num_vgpr, 20
	.set naive_conv_ab_packed_fwd_ncdhw_half_double_half.num_agpr, 0
	.set naive_conv_ab_packed_fwd_ncdhw_half_double_half.numbered_sgpr, 76
	.set naive_conv_ab_packed_fwd_ncdhw_half_double_half.num_named_barrier, 0
	.set naive_conv_ab_packed_fwd_ncdhw_half_double_half.private_seg_size, 0
	.set naive_conv_ab_packed_fwd_ncdhw_half_double_half.uses_vcc, 1
	.set naive_conv_ab_packed_fwd_ncdhw_half_double_half.uses_flat_scratch, 0
	.set naive_conv_ab_packed_fwd_ncdhw_half_double_half.has_dyn_sized_stack, 0
	.set naive_conv_ab_packed_fwd_ncdhw_half_double_half.has_recursion, 0
	.set naive_conv_ab_packed_fwd_ncdhw_half_double_half.has_indirect_call, 0
	.section	.AMDGPU.csdata,"",@progbits
; Kernel info:
; codeLenInByte = 2356
; TotalNumSgprs: 78
; NumVgprs: 20
; ScratchSize: 0
; MemoryBound: 0
; FloatMode: 240
; IeeeMode: 1
; LDSByteSize: 0 bytes/workgroup (compile time only)
; SGPRBlocks: 0
; VGPRBlocks: 1
; NumSGPRsForWavesPerEU: 78
; NumVGPRsForWavesPerEU: 20
; NamedBarCnt: 0
; Occupancy: 16
; WaveLimiterHint : 1
; COMPUTE_PGM_RSRC2:SCRATCH_EN: 0
; COMPUTE_PGM_RSRC2:USER_SGPR: 2
; COMPUTE_PGM_RSRC2:TRAP_HANDLER: 0
; COMPUTE_PGM_RSRC2:TGID_X_EN: 1
; COMPUTE_PGM_RSRC2:TGID_Y_EN: 0
; COMPUTE_PGM_RSRC2:TGID_Z_EN: 0
; COMPUTE_PGM_RSRC2:TIDIG_COMP_CNT: 0
	.text
	.protected	naive_conv_ab_nonpacked_fwd_ncdhw_half_double_half ; -- Begin function naive_conv_ab_nonpacked_fwd_ncdhw_half_double_half
	.globl	naive_conv_ab_nonpacked_fwd_ncdhw_half_double_half
	.p2align	8
	.type	naive_conv_ab_nonpacked_fwd_ncdhw_half_double_half,@function
naive_conv_ab_nonpacked_fwd_ncdhw_half_double_half: ; @naive_conv_ab_nonpacked_fwd_ncdhw_half_double_half
; %bb.0:
	s_load_b512 s[4:19], s[0:1], 0xb8
	s_bfe_u32 s2, ttmp6, 0x4000c
	s_and_b32 s3, ttmp6, 15
	s_add_co_i32 s2, s2, 1
	s_getreg_b32 s20, hwreg(HW_REG_IB_STS2, 6, 4)
	s_mul_i32 s2, ttmp9, s2
	s_delay_alu instid0(SALU_CYCLE_1)
	s_add_co_i32 s3, s3, s2
	s_cmp_eq_u32 s20, 0
	s_cselect_b32 s20, ttmp9, s3
	s_wait_kmcnt 0x0
	s_abs_i32 s3, s8
	s_mul_i32 s80, s12, s11
	s_cvt_f32_u32 s2, s3
	s_delay_alu instid0(SALU_CYCLE_3) | instskip(SKIP_1) | instid1(TRANS32_DEP_1)
	v_rcp_iflag_f32_e32 v1, s2
	v_nop
	v_readfirstlane_b32 s2, v1
	s_mul_f32 s2, s2, 0x4f7ffffe
	s_delay_alu instid0(SALU_CYCLE_3) | instskip(SKIP_1) | instid1(SALU_CYCLE_2)
	s_cvt_u32_f32 s21, s2
	s_sub_co_i32 s2, 0, s3
	s_mul_i32 s2, s2, s21
	s_delay_alu instid0(SALU_CYCLE_1) | instskip(SKIP_2) | instid1(SALU_CYCLE_1)
	s_mul_hi_u32 s22, s21, s2
	s_abs_i32 s2, s20
	s_add_co_i32 s21, s21, s22
	s_mul_hi_u32 s21, s2, s21
	s_delay_alu instid0(SALU_CYCLE_1) | instskip(SKIP_2) | instid1(SALU_CYCLE_1)
	s_mul_i32 s22, s21, s3
	s_add_co_i32 s23, s21, 1
	s_sub_co_i32 s22, s2, s22
	s_sub_co_i32 s24, s22, s3
	s_cmp_ge_u32 s22, s3
	s_cselect_b32 s23, s23, s21
	s_cselect_b32 s21, s24, s22
	s_add_co_i32 s22, s23, 1
	s_cmp_ge_u32 s21, s3
	s_mul_i32 s21, s8, s7
	s_cselect_b32 s22, s22, s23
	s_abs_i32 s29, s7
	s_abs_i32 s28, s21
	s_cvt_f32_u32 s3, s29
	s_cvt_f32_u32 s7, s28
	s_mov_b32 s24, exec_lo
	s_delay_alu instid0(SALU_CYCLE_1) | instskip(NEXT) | instid1(SALU_CYCLE_1)
	v_rcp_iflag_f32_e32 v1, s3
	v_rcp_iflag_f32_e32 v2, s7
	s_mul_i32 s7, s80, s10
	s_mov_b32 s3, 0
	s_delay_alu instid0(TRANS32_DEP_2) | instskip(NEXT) | instid1(TRANS32_DEP_1)
	v_readfirstlane_b32 s23, v1
	v_readfirstlane_b32 s10, v2
	v_cmpx_gt_i32_e64 s7, v0
	s_cbranch_execz .LBB51_22
; %bb.1:
	s_ashr_i32 s33, s20, 31
	s_ashr_i32 s24, s8, 31
	s_mul_f32 s23, s23, 0x4f7ffffe
	s_xor_b32 s24, s33, s24
	s_mul_f32 s10, s10, 0x4f7ffffe
	s_xor_b32 s22, s22, s24
	s_cvt_u32_f32 s23, s23
	s_sub_co_i32 s26, s22, s24
	s_sub_co_i32 s22, 0, s29
	s_cvt_u32_f32 s10, s10
	s_mul_i32 s22, s22, s23
	s_sub_co_i32 s27, 0, s28
	s_mul_hi_u32 s24, s23, s22
	s_abs_i32 s22, s26
	s_add_co_i32 s24, s23, s24
	s_mov_b32 s23, s3
	s_mov_b32 s25, s3
	s_mul_i32 s27, s27, s10
	s_mul_u64 s[24:25], s[22:23], s[24:25]
	s_mul_hi_u32 s23, s10, s27
	s_ashr_i32 s34, s26, 31
	s_add_co_i32 s30, s10, s23
	s_mul_i32 s10, s25, s29
	s_mul_i32 s26, s26, s8
	s_sub_co_i32 s8, s22, s10
	s_ashr_i32 s35, s21, 31
	s_sub_co_i32 s68, s20, s26
	s_sub_co_i32 s10, s8, s29
	s_cmp_ge_u32 s8, s29
	s_mov_b32 s31, s3
	s_cselect_b32 s8, s10, s8
	s_mul_u64 s[30:31], s[2:3], s[30:31]
	s_sub_co_i32 s10, s8, s29
	s_cmp_ge_u32 s8, s29
	s_load_b256 s[20:27], s[0:1], 0x0
	s_cselect_b32 s8, s10, s8
	s_xor_b32 s10, s33, s35
	s_xor_b32 s8, s8, s34
	s_load_b512 s[36:51], s[0:1], 0x28
	s_sub_co_i32 s34, s8, s34
	s_mul_i32 s8, s31, s28
	s_load_b128 s[72:75], s[0:1], 0xa8
	s_sub_co_i32 s2, s2, s8
	s_add_co_i32 s8, s31, 1
	s_sub_co_i32 s29, s2, s28
	s_cmp_ge_u32 s2, s28
	s_load_b512 s[52:67], s[0:1], 0x68
	s_cselect_b32 s8, s8, s31
	s_cselect_b32 s2, s29, s2
	s_add_co_i32 s29, s8, 1
	s_cmp_ge_u32 s2, s28
	s_load_b64 s[78:79], s[0:1], 0x20
	s_cselect_b32 s2, s29, s8
	s_clause 0x1
	s_load_b128 s[28:31], s[0:1], 0xf8
	s_load_b32 s8, s[0:1], 0x108
	s_xor_b32 s2, s2, s10
	s_wait_kmcnt 0x0
	v_cmp_neq_f64_e64 s81, s[26:27], 0
	s_sub_co_i32 s70, s2, s10
	v_cmp_neq_f64_e64 s2, s[24:25], 1.0
	s_ashr_i32 s35, s34, 31
	s_ashr_i32 s71, s70, 31
	;; [unrolled: 1-line block ×3, first 2 shown]
	s_mul_u64 s[46:47], s[46:47], s[34:35]
	s_mul_u64 s[44:45], s[44:45], s[70:71]
	;; [unrolled: 1-line block ×5, first 2 shown]
	s_lshl_b64 s[46:47], s[46:47], 1
	s_lshl_b64 s[44:45], s[44:45], 1
	;; [unrolled: 1-line block ×5, first 2 shown]
	s_cmp_gt_i32 s9, 0
	s_load_b32 s0, s[0:1], 0x11c
	s_cselect_b32 s33, -1, 0
	s_cmp_gt_i32 s30, 0
	v_mov_b32_e32 v3, 0
	s_cselect_b32 s72, -1, 0
	s_cmp_gt_i32 s31, 0
	s_cselect_b32 s73, -1, 0
	s_cmp_gt_i32 s8, 0
	s_wait_xcnt 0x0
	s_cselect_b32 s1, -1, 0
	s_abs_i32 s74, s12
	s_abs_i32 s75, s11
	s_cvt_f32_u32 s10, s74
	s_lshl_b64 s[54:55], s[54:55], 1
	s_lshl_b64 s[52:53], s[52:53], 1
	;; [unrolled: 1-line block ×3, first 2 shown]
	v_rcp_iflag_f32_e32 v1, s10
	s_add_nc_u64 s[10:11], s[20:21], s[46:47]
	s_cvt_f32_u32 s46, s75
	s_add_nc_u64 s[20:21], s[78:79], s[34:35]
	s_wait_kmcnt 0x0
	s_and_b32 s78, s0, 0xffff
	s_add_nc_u64 s[20:21], s[20:21], s[76:77]
	v_rcp_iflag_f32_e32 v2, s46
	s_abs_i32 s76, s80
	v_readfirstlane_b32 s34, v1
	s_cvt_f32_u32 s35, s76
	s_or_b32 s77, s2, s81
	s_add_nc_u64 s[10:11], s[10:11], s[44:45]
	s_mul_u64 s[46:47], s[56:57], s[68:69]
	s_mul_f32 s2, s34, 0x4f7ffffe
	v_rcp_iflag_f32_e32 v1, s35
	v_readfirstlane_b32 s34, v2
	s_mul_u64 s[56:57], s[58:59], s[70:71]
	s_cvt_u32_f32 s0, s2
	s_sub_co_i32 s2, 0, s74
	s_lshl_b64 s[58:59], s[46:47], 1
	s_mul_f32 s34, s34, 0x4f7ffffe
	v_readfirstlane_b32 s35, v1
	s_mul_i32 s2, s2, s0
	s_lshl_b64 s[56:57], s[56:57], 1
	s_mul_hi_u32 s2, s0, s2
	s_cvt_u32_f32 s44, s34
	s_add_co_i32 s34, s0, s2
	s_sub_co_i32 s0, 0, s75
	s_mul_f32 s2, s35, 0x4f7ffffe
	s_mul_i32 s0, s0, s44
	v_mov_b32_e32 v1, 0x7e00
	s_mul_hi_u32 s0, s44, s0
	s_cvt_u32_f32 s2, s2
	s_add_co_i32 s44, s44, s0
	s_sub_co_i32 s0, 0, s76
	s_add_nc_u64 s[56:57], s[58:59], s[56:57]
	s_mul_i32 s0, s0, s2
	s_add_nc_u64 s[20:21], s[20:21], s[66:67]
	s_mul_hi_u32 s0, s2, s0
	s_ashr_i32 s79, s12, 31
	s_mov_b32 s35, s3
	s_mov_b32 s45, s3
	s_ashr_i32 s80, s80, 31
	s_add_co_i32 s46, s2, s0
	s_mov_b32 s47, s3
	s_add_nc_u64 s[22:23], s[22:23], s[56:57]
	s_lshl_b64 s[48:49], s[48:49], 1
	s_mov_b32 s81, 0
	s_branch .LBB51_3
.LBB51_2:                               ;   in Loop: Header=BB51_3 Depth=1
	v_add_nc_u32_e32 v0, s78, v0
	s_delay_alu instid0(VALU_DEP_1)
	v_cmp_le_i32_e32 vcc_lo, s7, v0
	s_or_b32 s81, vcc_lo, s81
	s_wait_xcnt 0x0
	s_and_not1_b32 exec_lo, exec_lo, s81
	s_cbranch_execz .LBB51_22
.LBB51_3:                               ; =>This Loop Header: Depth=1
                                        ;     Child Loop BB51_6 Depth 2
                                        ;       Child Loop BB51_9 Depth 3
                                        ;         Child Loop BB51_12 Depth 4
                                        ;           Child Loop BB51_15 Depth 5
	v_dual_sub_nc_u32 v2, 0, v0 :: v_dual_ashrrev_i32 v10, 31, v0
	s_delay_alu instid0(VALU_DEP_1) | instskip(NEXT) | instid1(VALU_DEP_1)
	v_max_i32_e32 v2, v0, v2
	v_mul_u64_e32 v[4:5], s[34:35], v[2:3]
	v_mul_u64_e32 v[8:9], s[46:47], v[2:3]
	s_delay_alu instid0(VALU_DEP_2) | instskip(NEXT) | instid1(VALU_DEP_1)
	v_mul_lo_u32 v4, v5, s74
	v_dual_add_nc_u32 v6, 1, v5 :: v_dual_sub_nc_u32 v4, v2, v4
	s_delay_alu instid0(VALU_DEP_1) | instskip(NEXT) | instid1(VALU_DEP_2)
	v_cmp_le_u32_e32 vcc_lo, s74, v4
	v_cndmask_b32_e32 v5, v5, v6, vcc_lo
	v_subrev_nc_u32_e32 v7, s74, v4
	s_delay_alu instid0(VALU_DEP_1) | instskip(SKIP_1) | instid1(VALU_DEP_2)
	v_dual_add_nc_u32 v6, 1, v5 :: v_dual_cndmask_b32 v4, v4, v7, vcc_lo
	v_xor_b32_e32 v7, s79, v10
	v_cmp_le_u32_e32 vcc_lo, s74, v4
	s_delay_alu instid0(VALU_DEP_3) | instskip(NEXT) | instid1(VALU_DEP_1)
	v_dual_cndmask_b32 v4, v5, v6 :: v_dual_mov_b32 v5, v3
	v_xor_b32_e32 v4, v4, v7
	s_delay_alu instid0(VALU_DEP_1) | instskip(NEXT) | instid1(VALU_DEP_1)
	v_sub_nc_u32_e32 v11, v4, v7
	v_sub_nc_u32_e32 v4, 0, v11
	s_delay_alu instid0(VALU_DEP_1) | instskip(NEXT) | instid1(VALU_DEP_1)
	v_max_i32_e32 v4, v11, v4
	v_mul_u64_e32 v[6:7], s[44:45], v[4:5]
	v_mul_lo_u32 v6, v9, s76
	s_delay_alu instid0(VALU_DEP_1) | instskip(NEXT) | instid1(VALU_DEP_1)
	v_dual_sub_nc_u32 v2, v2, v6 :: v_dual_add_nc_u32 v6, 1, v9
	v_cmp_le_u32_e32 vcc_lo, s76, v2
	s_delay_alu instid0(VALU_DEP_4) | instskip(SKIP_1) | instid1(VALU_DEP_1)
	v_mul_lo_u32 v5, v7, s75
	v_subrev_nc_u32_e32 v7, s76, v2
	v_dual_cndmask_b32 v2, v2, v7, vcc_lo :: v_dual_bitop2_b32 v8, s80, v10 bitop3:0x14
	s_delay_alu instid0(VALU_DEP_3) | instskip(NEXT) | instid1(VALU_DEP_1)
	v_dual_sub_nc_u32 v4, v4, v5 :: v_dual_ashrrev_i32 v10, 31, v11
	v_subrev_nc_u32_e32 v5, s75, v4
	v_cmp_le_u32_e64 s0, s75, v4
	s_delay_alu instid0(VALU_DEP_1) | instskip(SKIP_1) | instid1(VALU_DEP_2)
	v_dual_cndmask_b32 v4, v4, v5, s0 :: v_dual_cndmask_b32 v5, v9, v6, vcc_lo
	v_mul_lo_u32 v9, v11, s12
	v_subrev_nc_u32_e32 v6, s75, v4
	v_cmp_le_u32_e32 vcc_lo, s75, v4
	s_delay_alu instid0(VALU_DEP_2) | instskip(SKIP_1) | instid1(VALU_DEP_2)
	v_dual_cndmask_b32 v4, v4, v6 :: v_dual_add_nc_u32 v7, 1, v5
	v_cmp_le_u32_e32 vcc_lo, s76, v2
	v_dual_sub_nc_u32 v6, v0, v9 :: v_dual_cndmask_b32 v2, v5, v7, vcc_lo
	s_and_not1_b32 vcc_lo, exec_lo, s33
	s_delay_alu instid0(VALU_DEP_1) | instskip(NEXT) | instid1(VALU_DEP_1)
	v_xor_b32_e32 v2, v2, v8
	v_dual_sub_nc_u32 v12, v2, v8 :: v_dual_bitop2_b32 v4, v4, v10 bitop3:0x14
	s_delay_alu instid0(VALU_DEP_1)
	v_sub_nc_u32_e32 v13, v4, v10
	s_cbranch_vccnz .LBB51_17
; %bb.4:                                ;   in Loop: Header=BB51_3 Depth=1
	s_delay_alu instid0(VALU_DEP_2) | instskip(NEXT) | instid1(VALU_DEP_2)
	v_mul_lo_u32 v2, v12, s13
	v_mul_lo_u32 v8, v13, s14
	;; [unrolled: 1-line block ×3, first 2 shown]
	v_mov_b64_e32 v[4:5], 0
	s_mov_b32 s2, 0
	s_mov_b64 s[56:57], s[22:23]
	s_delay_alu instid0(VALU_DEP_4) | instskip(NEXT) | instid1(VALU_DEP_4)
	v_subrev_nc_u32_e32 v7, s19, v2
	v_subrev_nc_u32_e32 v14, s28, v8
	s_delay_alu instid0(VALU_DEP_4)
	v_subrev_nc_u32_e32 v15, s29, v9
	s_branch .LBB51_6
.LBB51_5:                               ;   in Loop: Header=BB51_6 Depth=2
	s_add_co_i32 s2, s2, 1
	s_add_nc_u64 s[56:57], s[56:57], s[54:55]
	s_cmp_eq_u32 s2, s9
	s_cbranch_scc1 .LBB51_18
.LBB51_6:                               ;   Parent Loop BB51_3 Depth=1
                                        ; =>  This Loop Header: Depth=2
                                        ;       Child Loop BB51_9 Depth 3
                                        ;         Child Loop BB51_12 Depth 4
                                        ;           Child Loop BB51_15 Depth 5
	s_and_not1_b32 vcc_lo, exec_lo, s72
	s_cbranch_vccnz .LBB51_5
; %bb.7:                                ;   in Loop: Header=BB51_6 Depth=2
	s_mul_u64 s[58:59], s[42:43], s[2:3]
	s_mov_b32 s82, 0
	s_lshl_b64 s[58:59], s[58:59], 1
	s_mov_b64 s[66:67], s[56:57]
	s_add_nc_u64 s[58:59], s[10:11], s[58:59]
	s_branch .LBB51_9
.LBB51_8:                               ;   in Loop: Header=BB51_9 Depth=3
	s_add_co_i32 s82, s82, 1
	s_add_nc_u64 s[66:67], s[66:67], s[52:53]
	s_cmp_eq_u32 s82, s30
	s_cbranch_scc1 .LBB51_5
.LBB51_9:                               ;   Parent Loop BB51_3 Depth=1
                                        ;     Parent Loop BB51_6 Depth=2
                                        ; =>    This Loop Header: Depth=3
                                        ;         Child Loop BB51_12 Depth 4
                                        ;           Child Loop BB51_15 Depth 5
	s_and_not1_b32 vcc_lo, exec_lo, s73
	s_cbranch_vccnz .LBB51_8
; %bb.10:                               ;   in Loop: Header=BB51_9 Depth=3
	v_mad_u32 v2, s82, s16, v7
	s_mov_b32 s83, 0
	s_mov_b64 s[68:69], s[66:67]
	s_delay_alu instid0(VALU_DEP_1)
	v_mul_u64_e32 v[8:9], s[40:41], v[2:3]
	v_cmp_gt_i32_e32 vcc_lo, 0, v2
	v_cmp_le_i32_e64 s0, s4, v2
	s_or_b32 s84, vcc_lo, s0
	v_lshl_add_u64 v[8:9], v[8:9], 1, s[58:59]
	s_branch .LBB51_12
.LBB51_11:                              ;   in Loop: Header=BB51_12 Depth=4
	s_add_co_i32 s83, s83, 1
	s_add_nc_u64 s[68:69], s[68:69], s[50:51]
	s_cmp_eq_u32 s83, s31
	s_cbranch_scc1 .LBB51_8
.LBB51_12:                              ;   Parent Loop BB51_3 Depth=1
                                        ;     Parent Loop BB51_6 Depth=2
                                        ;       Parent Loop BB51_9 Depth=3
                                        ; =>      This Loop Header: Depth=4
                                        ;           Child Loop BB51_15 Depth 5
	s_and_not1_b32 vcc_lo, exec_lo, s1
	s_cbranch_vccnz .LBB51_11
; %bb.13:                               ;   in Loop: Header=BB51_12 Depth=4
	v_mad_u32 v2, s83, s17, v14
	s_mov_b64 s[70:71], s[68:69]
	s_mov_b32 s86, s8
	s_delay_alu instid0(VALU_DEP_1) | instskip(SKIP_4) | instid1(SALU_CYCLE_1)
	v_mul_u64_e32 v[10:11], s[38:39], v[2:3]
	v_cmp_gt_i32_e32 vcc_lo, 0, v2
	v_cmp_le_i32_e64 s0, s5, v2
	v_mov_b32_e32 v2, v15
	s_or_b32 s0, vcc_lo, s0
	s_or_b32 s85, s84, s0
	v_lshl_add_u64 v[10:11], v[10:11], 1, v[8:9]
	s_branch .LBB51_15
.LBB51_14:                              ;   in Loop: Header=BB51_15 Depth=5
	s_wait_xcnt 0x0
	s_or_b32 exec_lo, exec_lo, s0
	v_add_nc_u32_e32 v2, s18, v2
	s_add_co_i32 s86, s86, -1
	s_add_nc_u64 s[70:71], s[70:71], s[48:49]
	s_cmp_eq_u32 s86, 0
	s_cbranch_scc1 .LBB51_11
.LBB51_15:                              ;   Parent Loop BB51_3 Depth=1
                                        ;     Parent Loop BB51_6 Depth=2
                                        ;       Parent Loop BB51_9 Depth=3
                                        ;         Parent Loop BB51_12 Depth=4
                                        ; =>        This Inner Loop Header: Depth=5
	v_cmp_gt_i32_e32 vcc_lo, 0, v2
	v_cmp_le_i32_e64 s0, s6, v2
	s_or_b32 s0, vcc_lo, s0
	s_delay_alu instid0(SALU_CYCLE_1) | instskip(NEXT) | instid1(SALU_CYCLE_1)
	s_nor_b32 s87, s85, s0
	s_and_saveexec_b32 s0, s87
	s_cbranch_execz .LBB51_14
; %bb.16:                               ;   in Loop: Header=BB51_15 Depth=5
	v_mul_u64_e32 v[16:17], s[36:37], v[2:3]
	s_delay_alu instid0(VALU_DEP_1)
	v_lshl_add_u64 v[16:17], v[16:17], 1, v[10:11]
	global_load_u16 v16, v[16:17], off
	global_load_u16 v17, v3, s[70:71]
	s_wait_loadcnt 0x1
	v_cvt_f32_f16_e32 v16, v16
	s_wait_loadcnt 0x0
	v_cvt_f32_f16_e32 v18, v17
	s_delay_alu instid0(VALU_DEP_2) | instskip(NEXT) | instid1(VALU_DEP_2)
	v_cvt_f64_f32_e32 v[16:17], v16
	v_cvt_f64_f32_e32 v[18:19], v18
	s_delay_alu instid0(VALU_DEP_1)
	v_fmac_f64_e32 v[4:5], v[16:17], v[18:19]
	s_branch .LBB51_14
.LBB51_17:                              ;   in Loop: Header=BB51_3 Depth=1
	v_mov_b64_e32 v[4:5], 0
.LBB51_18:                              ;   in Loop: Header=BB51_3 Depth=1
	v_ashrrev_i32_e32 v7, 31, v6
	s_and_b32 vcc_lo, exec_lo, s77
	s_mov_b32 s0, -1
	s_delay_alu instid0(VALU_DEP_1) | instskip(NEXT) | instid1(VALU_DEP_1)
	v_mul_u64_e32 v[6:7], s[60:61], v[6:7]
	v_mad_nc_u64_u32 v[6:7], s62, v13, v[6:7]
	s_delay_alu instid0(VALU_DEP_1) | instskip(SKIP_1) | instid1(VALU_DEP_1)
	v_mad_u32 v2, s63, v13, v7
	v_ashrrev_i32_e32 v7, 31, v13
	v_mad_u32 v7, s62, v7, v2
	s_delay_alu instid0(VALU_DEP_1) | instskip(NEXT) | instid1(VALU_DEP_1)
	v_mad_nc_u64_u32 v[6:7], s64, v12, v[6:7]
	v_mad_u32 v2, s65, v12, v7
	v_ashrrev_i32_e32 v7, 31, v12
	s_delay_alu instid0(VALU_DEP_1) | instskip(NEXT) | instid1(VALU_DEP_1)
	v_mad_u32 v7, s64, v7, v2
	v_lshl_add_u64 v[6:7], v[6:7], 1, s[20:21]
	s_cbranch_vccz .LBB51_20
; %bb.19:                               ;   in Loop: Header=BB51_3 Depth=1
	global_load_u16 v2, v[6:7], off
	s_mov_b32 s0, 0
	s_wait_loadcnt 0x0
	v_cvt_f32_f16_e32 v2, v2
	s_delay_alu instid0(VALU_DEP_1) | instskip(NEXT) | instid1(VALU_DEP_1)
	v_cvt_f64_f32_e32 v[8:9], v2
	v_mul_f64_e32 v[8:9], s[26:27], v[8:9]
	s_delay_alu instid0(VALU_DEP_1) | instskip(NEXT) | instid1(VALU_DEP_1)
	v_fmac_f64_e32 v[8:9], s[24:25], v[4:5]
	v_and_or_b32 v2, 0x1ff, v9, v8
	v_lshrrev_b32_e32 v8, 8, v9
	v_bfe_u32 v10, v9, 20, 11
	s_delay_alu instid0(VALU_DEP_3) | instskip(NEXT) | instid1(VALU_DEP_2)
	v_cmp_ne_u32_e32 vcc_lo, 0, v2
	v_sub_nc_u32_e32 v11, 0x3f1, v10
	v_add_nc_u32_e32 v10, 0xfffffc10, v10
	v_cndmask_b32_e64 v2, 0, 1, vcc_lo
	s_delay_alu instid0(VALU_DEP_1) | instskip(NEXT) | instid1(VALU_DEP_4)
	v_and_or_b32 v2, 0xffe, v8, v2
	v_med3_i32 v8, v11, 0, 13
	s_delay_alu instid0(VALU_DEP_2) | instskip(NEXT) | instid1(VALU_DEP_1)
	v_or_b32_e32 v11, 0x1000, v2
	v_lshrrev_b32_e32 v12, v8, v11
	s_delay_alu instid0(VALU_DEP_1) | instskip(NEXT) | instid1(VALU_DEP_1)
	v_lshlrev_b32_e32 v8, v8, v12
	v_cmp_ne_u32_e32 vcc_lo, v8, v11
	v_lshl_or_b32 v11, v10, 12, v2
	v_cndmask_b32_e64 v8, 0, 1, vcc_lo
	v_cmp_gt_i32_e32 vcc_lo, 1, v10
	s_delay_alu instid0(VALU_DEP_2) | instskip(NEXT) | instid1(VALU_DEP_1)
	v_or_b32_e32 v8, v12, v8
	v_cndmask_b32_e32 v8, v11, v8, vcc_lo
	s_delay_alu instid0(VALU_DEP_1) | instskip(NEXT) | instid1(VALU_DEP_1)
	v_dual_lshrrev_b32 v8, 2, v8 :: v_dual_bitop2_b32 v11, 7, v8 bitop3:0x40
	v_cmp_lt_i32_e32 vcc_lo, 5, v11
	v_cndmask_b32_e64 v12, 0, 1, vcc_lo
	v_cmp_eq_u32_e32 vcc_lo, 3, v11
	v_cndmask_b32_e64 v11, 0, 1, vcc_lo
	v_cmp_ne_u32_e32 vcc_lo, 0, v2
	s_delay_alu instid0(VALU_DEP_2) | instskip(SKIP_2) | instid1(VALU_DEP_3)
	v_or_b32_e32 v11, v11, v12
	v_cndmask_b32_e32 v2, 0x7c00, v1, vcc_lo
	v_cmp_gt_i32_e32 vcc_lo, 31, v10
	v_add_nc_u32_e32 v8, v8, v11
	s_delay_alu instid0(VALU_DEP_1) | instskip(SKIP_1) | instid1(VALU_DEP_2)
	v_cndmask_b32_e32 v8, 0x7c00, v8, vcc_lo
	v_cmp_eq_u32_e32 vcc_lo, 0x40f, v10
	v_dual_cndmask_b32 v2, v8, v2, vcc_lo :: v_dual_lshrrev_b32 v8, 16, v9
	s_delay_alu instid0(VALU_DEP_1)
	v_and_or_b32 v2, 0x8000, v8, v2
	global_store_b16 v[6:7], v2, off
.LBB51_20:                              ;   in Loop: Header=BB51_3 Depth=1
	s_and_not1_b32 vcc_lo, exec_lo, s0
	s_cbranch_vccnz .LBB51_2
; %bb.21:                               ;   in Loop: Header=BB51_3 Depth=1
	s_wait_xcnt 0x0
	v_and_or_b32 v2, 0x1ff, v5, v4
	v_lshrrev_b32_e32 v4, 8, v5
	v_bfe_u32 v8, v5, 20, 11
	s_delay_alu instid0(VALU_DEP_3) | instskip(NEXT) | instid1(VALU_DEP_2)
	v_cmp_ne_u32_e32 vcc_lo, 0, v2
	v_sub_nc_u32_e32 v9, 0x3f1, v8
	v_add_nc_u32_e32 v8, 0xfffffc10, v8
	v_cndmask_b32_e64 v2, 0, 1, vcc_lo
	s_delay_alu instid0(VALU_DEP_1) | instskip(NEXT) | instid1(VALU_DEP_4)
	v_and_or_b32 v2, 0xffe, v4, v2
	v_med3_i32 v4, v9, 0, 13
	s_delay_alu instid0(VALU_DEP_2) | instskip(NEXT) | instid1(VALU_DEP_1)
	v_or_b32_e32 v9, 0x1000, v2
	v_lshrrev_b32_e32 v10, v4, v9
	s_delay_alu instid0(VALU_DEP_1) | instskip(NEXT) | instid1(VALU_DEP_1)
	v_lshlrev_b32_e32 v4, v4, v10
	v_cmp_ne_u32_e32 vcc_lo, v4, v9
	v_lshl_or_b32 v9, v8, 12, v2
	v_cndmask_b32_e64 v4, 0, 1, vcc_lo
	v_cmp_gt_i32_e32 vcc_lo, 1, v8
	s_delay_alu instid0(VALU_DEP_2) | instskip(NEXT) | instid1(VALU_DEP_1)
	v_or_b32_e32 v4, v10, v4
	v_cndmask_b32_e32 v4, v9, v4, vcc_lo
	s_delay_alu instid0(VALU_DEP_1) | instskip(NEXT) | instid1(VALU_DEP_1)
	v_dual_lshrrev_b32 v4, 2, v4 :: v_dual_bitop2_b32 v9, 7, v4 bitop3:0x40
	v_cmp_lt_i32_e32 vcc_lo, 5, v9
	v_cndmask_b32_e64 v10, 0, 1, vcc_lo
	v_cmp_eq_u32_e32 vcc_lo, 3, v9
	v_cndmask_b32_e64 v9, 0, 1, vcc_lo
	v_cmp_ne_u32_e32 vcc_lo, 0, v2
	s_delay_alu instid0(VALU_DEP_2) | instskip(SKIP_2) | instid1(VALU_DEP_3)
	v_or_b32_e32 v9, v9, v10
	v_cndmask_b32_e32 v2, 0x7c00, v1, vcc_lo
	v_cmp_gt_i32_e32 vcc_lo, 31, v8
	v_add_nc_u32_e32 v4, v4, v9
	s_delay_alu instid0(VALU_DEP_1) | instskip(SKIP_1) | instid1(VALU_DEP_2)
	v_cndmask_b32_e32 v4, 0x7c00, v4, vcc_lo
	v_cmp_eq_u32_e32 vcc_lo, 0x40f, v8
	v_dual_cndmask_b32 v2, v4, v2, vcc_lo :: v_dual_lshrrev_b32 v4, 16, v5
	s_delay_alu instid0(VALU_DEP_1)
	v_and_or_b32 v2, 0x8000, v4, v2
	global_store_b16 v[6:7], v2, off
	s_branch .LBB51_2
.LBB51_22:
	s_endpgm
	.section	.rodata,"a",@progbits
	.p2align	6, 0x0
	.amdhsa_kernel naive_conv_ab_nonpacked_fwd_ncdhw_half_double_half
		.amdhsa_group_segment_fixed_size 0
		.amdhsa_private_segment_fixed_size 0
		.amdhsa_kernarg_size 528
		.amdhsa_user_sgpr_count 2
		.amdhsa_user_sgpr_dispatch_ptr 0
		.amdhsa_user_sgpr_queue_ptr 0
		.amdhsa_user_sgpr_kernarg_segment_ptr 1
		.amdhsa_user_sgpr_dispatch_id 0
		.amdhsa_user_sgpr_kernarg_preload_length 0
		.amdhsa_user_sgpr_kernarg_preload_offset 0
		.amdhsa_user_sgpr_private_segment_size 0
		.amdhsa_wavefront_size32 1
		.amdhsa_uses_dynamic_stack 0
		.amdhsa_enable_private_segment 0
		.amdhsa_system_sgpr_workgroup_id_x 1
		.amdhsa_system_sgpr_workgroup_id_y 0
		.amdhsa_system_sgpr_workgroup_id_z 0
		.amdhsa_system_sgpr_workgroup_info 0
		.amdhsa_system_vgpr_workitem_id 0
		.amdhsa_next_free_vgpr 20
		.amdhsa_next_free_sgpr 88
		.amdhsa_named_barrier_count 0
		.amdhsa_reserve_vcc 1
		.amdhsa_float_round_mode_32 0
		.amdhsa_float_round_mode_16_64 0
		.amdhsa_float_denorm_mode_32 3
		.amdhsa_float_denorm_mode_16_64 3
		.amdhsa_fp16_overflow 0
		.amdhsa_memory_ordered 1
		.amdhsa_forward_progress 1
		.amdhsa_inst_pref_size 19
		.amdhsa_round_robin_scheduling 0
		.amdhsa_exception_fp_ieee_invalid_op 0
		.amdhsa_exception_fp_denorm_src 0
		.amdhsa_exception_fp_ieee_div_zero 0
		.amdhsa_exception_fp_ieee_overflow 0
		.amdhsa_exception_fp_ieee_underflow 0
		.amdhsa_exception_fp_ieee_inexact 0
		.amdhsa_exception_int_div_zero 0
	.end_amdhsa_kernel
	.text
.Lfunc_end51:
	.size	naive_conv_ab_nonpacked_fwd_ncdhw_half_double_half, .Lfunc_end51-naive_conv_ab_nonpacked_fwd_ncdhw_half_double_half
                                        ; -- End function
	.set naive_conv_ab_nonpacked_fwd_ncdhw_half_double_half.num_vgpr, 20
	.set naive_conv_ab_nonpacked_fwd_ncdhw_half_double_half.num_agpr, 0
	.set naive_conv_ab_nonpacked_fwd_ncdhw_half_double_half.numbered_sgpr, 88
	.set naive_conv_ab_nonpacked_fwd_ncdhw_half_double_half.num_named_barrier, 0
	.set naive_conv_ab_nonpacked_fwd_ncdhw_half_double_half.private_seg_size, 0
	.set naive_conv_ab_nonpacked_fwd_ncdhw_half_double_half.uses_vcc, 1
	.set naive_conv_ab_nonpacked_fwd_ncdhw_half_double_half.uses_flat_scratch, 0
	.set naive_conv_ab_nonpacked_fwd_ncdhw_half_double_half.has_dyn_sized_stack, 0
	.set naive_conv_ab_nonpacked_fwd_ncdhw_half_double_half.has_recursion, 0
	.set naive_conv_ab_nonpacked_fwd_ncdhw_half_double_half.has_indirect_call, 0
	.section	.AMDGPU.csdata,"",@progbits
; Kernel info:
; codeLenInByte = 2324
; TotalNumSgprs: 90
; NumVgprs: 20
; ScratchSize: 0
; MemoryBound: 0
; FloatMode: 240
; IeeeMode: 1
; LDSByteSize: 0 bytes/workgroup (compile time only)
; SGPRBlocks: 0
; VGPRBlocks: 1
; NumSGPRsForWavesPerEU: 90
; NumVGPRsForWavesPerEU: 20
; NamedBarCnt: 0
; Occupancy: 16
; WaveLimiterHint : 1
; COMPUTE_PGM_RSRC2:SCRATCH_EN: 0
; COMPUTE_PGM_RSRC2:USER_SGPR: 2
; COMPUTE_PGM_RSRC2:TRAP_HANDLER: 0
; COMPUTE_PGM_RSRC2:TGID_X_EN: 1
; COMPUTE_PGM_RSRC2:TGID_Y_EN: 0
; COMPUTE_PGM_RSRC2:TGID_Z_EN: 0
; COMPUTE_PGM_RSRC2:TIDIG_COMP_CNT: 0
	.text
	.protected	naive_conv_ab_packed_fwd_ncdhw_ushort_double_ushort ; -- Begin function naive_conv_ab_packed_fwd_ncdhw_ushort_double_ushort
	.globl	naive_conv_ab_packed_fwd_ncdhw_ushort_double_ushort
	.p2align	8
	.type	naive_conv_ab_packed_fwd_ncdhw_ushort_double_ushort,@function
naive_conv_ab_packed_fwd_ncdhw_ushort_double_ushort: ; @naive_conv_ab_packed_fwd_ncdhw_ushort_double_ushort
; %bb.0:
	s_load_b512 s[4:19], s[0:1], 0xb8
	s_bfe_u32 s2, ttmp6, 0x4000c
	s_and_b32 s3, ttmp6, 15
	s_add_co_i32 s2, s2, 1
	s_getreg_b32 s20, hwreg(HW_REG_IB_STS2, 6, 4)
	s_mul_i32 s2, ttmp9, s2
	s_mov_b32 s26, exec_lo
	s_add_co_i32 s3, s3, s2
	s_cmp_eq_u32 s20, 0
	s_cselect_b32 s20, ttmp9, s3
	s_wait_kmcnt 0x0
	s_abs_i32 s3, s8
	s_mul_i32 s48, s12, s11
	s_cvt_f32_u32 s2, s3
	s_mul_i32 s33, s48, s10
	s_delay_alu instid0(SALU_CYCLE_2) | instskip(SKIP_1) | instid1(TRANS32_DEP_1)
	v_rcp_iflag_f32_e32 v1, s2
	v_nop
	v_readfirstlane_b32 s2, v1
	s_mul_f32 s2, s2, 0x4f7ffffe
	s_delay_alu instid0(SALU_CYCLE_3) | instskip(SKIP_1) | instid1(SALU_CYCLE_2)
	s_cvt_u32_f32 s21, s2
	s_sub_co_i32 s2, 0, s3
	s_mul_i32 s2, s2, s21
	s_delay_alu instid0(SALU_CYCLE_1) | instskip(SKIP_2) | instid1(SALU_CYCLE_1)
	s_mul_hi_u32 s22, s21, s2
	s_abs_i32 s2, s20
	s_add_co_i32 s21, s21, s22
	s_mul_hi_u32 s21, s2, s21
	s_delay_alu instid0(SALU_CYCLE_1) | instskip(SKIP_2) | instid1(SALU_CYCLE_1)
	s_mul_i32 s22, s21, s3
	s_add_co_i32 s23, s21, 1
	s_sub_co_i32 s22, s2, s22
	s_sub_co_i32 s24, s22, s3
	s_cmp_ge_u32 s22, s3
	s_cselect_b32 s21, s23, s21
	s_cselect_b32 s22, s24, s22
	s_add_co_i32 s23, s21, 1
	s_cmp_ge_u32 s22, s3
	s_mul_i32 s22, s8, s7
	s_cselect_b32 s24, s23, s21
	s_abs_i32 s21, s7
	s_abs_i32 s7, s22
	s_cvt_f32_u32 s3, s21
	s_cvt_f32_u32 s23, s7
	s_delay_alu instid0(SALU_CYCLE_2) | instskip(NEXT) | instid1(SALU_CYCLE_2)
	v_rcp_iflag_f32_e32 v1, s3
	v_rcp_iflag_f32_e32 v2, s23
	s_mov_b32 s3, 0
	s_delay_alu instid0(TRANS32_DEP_2) | instskip(NEXT) | instid1(TRANS32_DEP_1)
	v_readfirstlane_b32 s25, v1
	v_readfirstlane_b32 s23, v2
	v_cmpx_gt_i32_e64 s33, v0
	s_cbranch_execz .LBB52_22
; %bb.1:
	s_ashr_i32 s30, s20, 31
	s_ashr_i32 s41, s8, 31
	s_mul_f32 s25, s25, 0x4f7ffffe
	s_xor_b32 s26, s30, s41
	s_mul_f32 s23, s23, 0x4f7ffffe
	s_xor_b32 s24, s24, s26
	s_cvt_u32_f32 s25, s25
	s_sub_co_i32 s28, s24, s26
	s_sub_co_i32 s24, 0, s21
	s_cvt_u32_f32 s23, s23
	s_mul_i32 s24, s24, s25
	s_sub_co_i32 s29, 0, s7
	s_mul_hi_u32 s26, s25, s24
	s_abs_i32 s24, s28
	s_add_co_i32 s26, s25, s26
	s_mov_b32 s25, s3
	s_mov_b32 s27, s3
	s_mul_i32 s29, s29, s23
	s_mul_u64 s[26:27], s[24:25], s[26:27]
	s_mul_hi_u32 s25, s23, s29
	s_ashr_i32 s26, s22, 31
	s_add_co_i32 s22, s23, s25
	s_mul_i32 s23, s27, s21
	s_ashr_i32 s31, s28, 31
	s_mul_i32 s28, s28, s8
	s_sub_co_i32 s23, s24, s23
	s_sub_co_i32 s42, s20, s28
	;; [unrolled: 1-line block ×3, first 2 shown]
	s_cmp_ge_u32 s23, s21
	s_clause 0x1
	s_load_b64 s[34:35], s[0:1], 0x108
	s_load_b32 s49, s[0:1], 0x11c
	s_cselect_b32 s20, s20, s23
	s_mov_b32 s40, s8
	s_sub_co_i32 s23, s20, s21
	s_cmp_ge_u32 s20, s21
	v_mov_b32_e32 v3, 0
	s_cselect_b32 s20, s23, s20
	s_mov_b32 s23, s3
	s_xor_b32 s20, s20, s31
	s_mul_u64 s[28:29], s[2:3], s[22:23]
	s_sub_co_i32 s44, s20, s31
	s_mul_i32 s20, s29, s7
	s_xor_b32 s38, s30, s26
	s_sub_co_i32 s2, s2, s20
	s_add_co_i32 s28, s29, 1
	s_sub_co_i32 s30, s2, s7
	s_cmp_ge_u32 s2, s7
	s_load_b256 s[20:27], s[0:1], 0x0
	s_cselect_b32 s36, s28, s29
	s_cselect_b32 s2, s30, s2
	s_add_co_i32 s37, s36, 1
	s_cmp_ge_u32 s2, s7
	s_load_b128 s[28:31], s[0:1], 0xf8
	s_cselect_b32 s2, s37, s36
	s_wait_kmcnt 0x0
	s_mul_i32 s36, s35, s9
	s_xor_b32 s2, s2, s38
	s_ashr_i32 s45, s44, 31
	s_ashr_i32 s37, s36, 31
	s_sub_co_i32 s46, s2, s38
	s_mul_u64 s[50:51], s[44:45], s[36:37]
	s_ashr_i32 s37, s4, 31
	s_mov_b32 s36, s4
	s_ashr_i32 s39, s5, 31
	s_mov_b32 s38, s5
	s_ashr_i32 s47, s46, 31
	s_ashr_i32 s5, s9, 31
	s_mov_b32 s4, s9
	s_ashr_i32 s7, s6, 31
	s_mul_u64 s[52:53], s[46:47], s[4:5]
	s_mul_u64 s[54:55], s[38:39], s[36:37]
	s_add_nc_u64 s[50:51], s[52:53], s[50:51]
	s_mul_u64 s[52:53], s[54:55], s[6:7]
	s_mul_i32 s54, s35, s8
	s_mul_u64 s[46:47], s[46:47], s[40:41]
	s_ashr_i32 s43, s42, 31
	s_ashr_i32 s55, s54, 31
	s_mul_u64 s[50:51], s[52:53], s[50:51]
	s_add_nc_u64 s[52:53], s[46:47], s[42:43]
	s_mul_u64 s[46:47], s[44:45], s[54:55]
	s_ashr_i32 s55, s10, 31
	s_mov_b32 s54, s10
	s_ashr_i32 s43, s11, 31
	s_mov_b32 s42, s11
	;; [unrolled: 2-line block ×3, first 2 shown]
	s_mul_u64 s[54:55], s[42:43], s[54:55]
	s_add_nc_u64 s[56:57], s[52:53], s[46:47]
	s_mul_u64 s[54:55], s[54:55], s[44:45]
	s_lshl_b64 s[50:51], s[50:51], 1
	s_mul_u64 s[54:55], s[54:55], s[56:57]
	s_ashr_i32 s35, s34, 31
	s_lshl_b64 s[54:55], s[54:55], 1
	s_load_b64 s[56:57], s[0:1], 0x20
	s_ashr_i32 s41, s30, 31
	s_ashr_i32 s47, s31, 31
	s_cmp_gt_i32 s9, 0
	v_cmp_neq_f64_e64 s2, s[24:25], 1.0
	s_cselect_b32 s43, -1, 0
	s_cmp_gt_i32 s30, 0
	v_cmp_neq_f64_e64 s58, s[26:27], 0
	s_cselect_b32 s66, -1, 0
	s_cmp_gt_i32 s31, 0
	s_add_nc_u64 s[8:9], s[20:21], s[50:51]
	s_cselect_b32 s67, -1, 0
	s_cmp_gt_i32 s34, 0
	s_mov_b32 s46, s31
	s_wait_xcnt 0x0
	s_cselect_b32 s1, -1, 0
	s_abs_i32 s12, s12
	s_abs_i32 s68, s11
	s_cvt_f32_u32 s0, s12
	s_abs_i32 s69, s48
	s_mov_b32 s40, s30
	s_cvt_f32_u32 s21, s69
	v_rcp_iflag_f32_e32 v1, s0
	s_cvt_f32_u32 s0, s68
	s_wait_kmcnt 0x0
	s_add_nc_u64 s[10:11], s[56:57], s[54:55]
	s_mul_u64 s[54:55], s[34:35], s[46:47]
	s_and_b32 s71, s49, 0xffff
	s_mul_u64 s[50:51], s[54:55], s[40:41]
	s_ashr_i32 s72, s48, 31
	v_nop
	v_readfirstlane_b32 s59, v1
	v_rcp_iflag_f32_e32 v1, s0
	s_mul_u64 s[48:49], s[50:51], s[52:53]
	s_lshl_b64 s[50:51], s[50:51], 1
	s_mul_u64 s[52:53], s[48:49], s[4:5]
	s_mul_f32 s0, s59, 0x4f7ffffe
	s_lshl_b64 s[52:53], s[52:53], 1
	s_mov_b32 s49, s3
	v_nop
	v_readfirstlane_b32 s20, v1
	v_rcp_iflag_f32_e32 v1, s21
	s_cvt_u32_f32 s0, s0
	s_or_b32 s70, s2, s58
	s_sub_co_i32 s2, 0, s12
	s_mul_f32 s20, s20, 0x4f7ffffe
	s_mul_i32 s2, s2, s0
	s_sub_co_i32 s21, 0, s68
	v_nop
	v_readfirstlane_b32 s31, v1
	s_cvt_u32_f32 s30, s20
	s_mul_hi_u32 s2, s0, s2
	s_add_nc_u64 s[22:23], s[22:23], s[52:53]
	s_add_co_i32 s20, s0, s2
	s_mul_i32 s0, s21, s30
	s_mul_f32 s2, s31, 0x4f7ffffe
	s_mul_hi_u32 s0, s30, s0
	s_mov_b32 s21, s3
	s_add_co_i32 s30, s30, s0
	s_cvt_u32_f32 s0, s2
	s_sub_co_i32 s2, 0, s69
	s_mov_b32 s31, s3
	s_lshl_b64 s[52:53], s[54:55], 1
	s_mul_i32 s2, s2, s0
	s_lshl_b64 s[54:55], s[34:35], 1
	s_mul_hi_u32 s2, s0, s2
	s_mov_b32 s5, 0
	s_add_co_i32 s48, s0, s2
	s_branch .LBB52_3
.LBB52_2:                               ;   in Loop: Header=BB52_3 Depth=1
	v_add_nc_u32_e32 v0, s71, v0
	s_delay_alu instid0(VALU_DEP_1)
	v_cmp_le_i32_e32 vcc_lo, s33, v0
	s_or_b32 s5, vcc_lo, s5
	s_wait_xcnt 0x0
	s_and_not1_b32 exec_lo, exec_lo, s5
	s_cbranch_execz .LBB52_22
.LBB52_3:                               ; =>This Loop Header: Depth=1
                                        ;     Child Loop BB52_6 Depth 2
                                        ;       Child Loop BB52_9 Depth 3
                                        ;         Child Loop BB52_12 Depth 4
                                        ;           Child Loop BB52_15 Depth 5
	v_dual_sub_nc_u32 v1, 0, v0 :: v_dual_ashrrev_i32 v10, 31, v0
	s_delay_alu instid0(VALU_DEP_1) | instskip(NEXT) | instid1(VALU_DEP_1)
	v_max_i32_e32 v2, v0, v1
	v_mul_u64_e32 v[4:5], s[20:21], v[2:3]
	s_delay_alu instid0(VALU_DEP_1) | instskip(SKIP_1) | instid1(VALU_DEP_2)
	v_mul_lo_u32 v1, v5, s12
	v_add_nc_u32_e32 v4, 1, v5
	v_sub_nc_u32_e32 v1, v2, v1
	s_delay_alu instid0(VALU_DEP_1) | instskip(SKIP_1) | instid1(VALU_DEP_4)
	v_subrev_nc_u32_e32 v6, s12, v1
	v_cmp_le_u32_e32 vcc_lo, s12, v1
	v_cndmask_b32_e32 v4, v5, v4, vcc_lo
	s_delay_alu instid0(VALU_DEP_3) | instskip(SKIP_1) | instid1(VALU_DEP_3)
	v_cndmask_b32_e32 v1, v1, v6, vcc_lo
	v_mul_u64_e32 v[8:9], s[48:49], v[2:3]
	v_add_nc_u32_e32 v5, 1, v4
	s_delay_alu instid0(VALU_DEP_3) | instskip(NEXT) | instid1(VALU_DEP_2)
	v_cmp_le_u32_e32 vcc_lo, s12, v1
	v_dual_cndmask_b32 v1, v4, v5, vcc_lo :: v_dual_bitop2_b32 v6, s45, v10 bitop3:0x14
	s_delay_alu instid0(VALU_DEP_1) | instskip(NEXT) | instid1(VALU_DEP_1)
	v_dual_mov_b32 v5, v3 :: v_dual_bitop2_b32 v1, v1, v6 bitop3:0x14
	v_sub_nc_u32_e32 v1, v1, v6
	s_delay_alu instid0(VALU_DEP_1) | instskip(NEXT) | instid1(VALU_DEP_1)
	v_sub_nc_u32_e32 v4, 0, v1
	v_max_i32_e32 v4, v1, v4
	s_delay_alu instid0(VALU_DEP_1) | instskip(SKIP_1) | instid1(VALU_DEP_1)
	v_mul_u64_e32 v[6:7], s[30:31], v[4:5]
	v_mul_lo_u32 v6, v9, s69
	v_dual_sub_nc_u32 v2, v2, v6 :: v_dual_add_nc_u32 v6, 1, v9
	s_delay_alu instid0(VALU_DEP_1) | instskip(NEXT) | instid1(VALU_DEP_4)
	v_cmp_le_u32_e32 vcc_lo, s69, v2
	v_mul_lo_u32 v5, v7, s68
	v_subrev_nc_u32_e32 v7, s69, v2
	s_delay_alu instid0(VALU_DEP_1) | instskip(SKIP_1) | instid1(VALU_DEP_2)
	v_dual_cndmask_b32 v2, v2, v7, vcc_lo :: v_dual_sub_nc_u32 v4, v4, v5
	v_mul_lo_u32 v8, v1, s44
	v_subrev_nc_u32_e32 v5, s68, v4
	v_cmp_le_u32_e64 s0, s68, v4
	s_delay_alu instid0(VALU_DEP_1) | instskip(SKIP_1) | instid1(VALU_DEP_2)
	v_dual_cndmask_b32 v4, v4, v5, s0 :: v_dual_cndmask_b32 v5, v9, v6, vcc_lo
	v_xor_b32_e32 v9, s72, v10
	v_subrev_nc_u32_e32 v6, s68, v4
	v_cmp_le_u32_e32 vcc_lo, s68, v4
	s_delay_alu instid0(VALU_DEP_2) | instskip(SKIP_2) | instid1(VALU_DEP_1)
	v_dual_cndmask_b32 v4, v4, v6 :: v_dual_add_nc_u32 v7, 1, v5
	v_cmp_le_u32_e32 vcc_lo, s69, v2
	v_dual_ashrrev_i32 v1, 31, v1 :: v_dual_sub_nc_u32 v6, v0, v8
	v_dual_cndmask_b32 v2, v5, v7, vcc_lo :: v_dual_bitop2_b32 v4, v4, v1 bitop3:0x14
	s_and_not1_b32 vcc_lo, exec_lo, s43
	s_delay_alu instid0(VALU_DEP_1) | instskip(NEXT) | instid1(VALU_DEP_2)
	v_xor_b32_e32 v2, v2, v9
	v_sub_nc_u32_e32 v8, v4, v1
	s_delay_alu instid0(VALU_DEP_2)
	v_sub_nc_u32_e32 v1, v2, v9
	s_cbranch_vccnz .LBB52_17
; %bb.4:                                ;   in Loop: Header=BB52_3 Depth=1
	s_delay_alu instid0(VALU_DEP_1) | instskip(NEXT) | instid1(VALU_DEP_3)
	v_mul_lo_u32 v2, v1, s13
	v_mul_lo_u32 v9, v8, s14
	;; [unrolled: 1-line block ×3, first 2 shown]
	v_mov_b64_e32 v[4:5], 0
	s_mov_b32 s2, 0
	s_mov_b64 s[56:57], s[22:23]
	s_delay_alu instid0(VALU_DEP_4) | instskip(NEXT) | instid1(VALU_DEP_4)
	v_subrev_nc_u32_e32 v7, s19, v2
	v_subrev_nc_u32_e32 v9, s28, v9
	s_delay_alu instid0(VALU_DEP_4)
	v_subrev_nc_u32_e32 v14, s29, v10
	s_branch .LBB52_6
.LBB52_5:                               ;   in Loop: Header=BB52_6 Depth=2
	s_add_co_i32 s2, s2, 1
	s_add_nc_u64 s[56:57], s[56:57], s[50:51]
	s_cmp_eq_u32 s2, s4
	s_cbranch_scc1 .LBB52_18
.LBB52_6:                               ;   Parent Loop BB52_3 Depth=1
                                        ; =>  This Loop Header: Depth=2
                                        ;       Child Loop BB52_9 Depth 3
                                        ;         Child Loop BB52_12 Depth 4
                                        ;           Child Loop BB52_15 Depth 5
	s_and_not1_b32 vcc_lo, exec_lo, s66
	s_cbranch_vccnz .LBB52_5
; %bb.7:                                ;   in Loop: Header=BB52_6 Depth=2
	s_mul_u64 s[58:59], s[2:3], s[36:37]
	s_mov_b32 s35, 0
	s_mov_b64 s[60:61], s[56:57]
	s_branch .LBB52_9
.LBB52_8:                               ;   in Loop: Header=BB52_9 Depth=3
	s_add_co_i32 s35, s35, 1
	s_add_nc_u64 s[60:61], s[60:61], s[52:53]
	s_cmp_eq_u32 s35, s40
	s_cbranch_scc1 .LBB52_5
.LBB52_9:                               ;   Parent Loop BB52_3 Depth=1
                                        ;     Parent Loop BB52_6 Depth=2
                                        ; =>    This Loop Header: Depth=3
                                        ;         Child Loop BB52_12 Depth 4
                                        ;           Child Loop BB52_15 Depth 5
	s_and_not1_b32 vcc_lo, exec_lo, s67
	s_cbranch_vccnz .LBB52_8
; %bb.10:                               ;   in Loop: Header=BB52_9 Depth=3
	v_mad_u32 v2, s35, s16, v7
	s_mov_b32 s41, 0
	s_mov_b64 s[62:63], s[60:61]
	s_delay_alu instid0(VALU_DEP_1)
	v_add_nc_u64_e32 v[10:11], s[58:59], v[2:3]
	v_cmp_gt_i32_e32 vcc_lo, 0, v2
	v_cmp_le_i32_e64 s0, s36, v2
	s_or_b32 s47, vcc_lo, s0
	v_mul_u64_e32 v[10:11], s[38:39], v[10:11]
	s_branch .LBB52_12
.LBB52_11:                              ;   in Loop: Header=BB52_12 Depth=4
	s_add_co_i32 s41, s41, 1
	s_add_nc_u64 s[62:63], s[62:63], s[54:55]
	s_cmp_eq_u32 s41, s46
	s_cbranch_scc1 .LBB52_8
.LBB52_12:                              ;   Parent Loop BB52_3 Depth=1
                                        ;     Parent Loop BB52_6 Depth=2
                                        ;       Parent Loop BB52_9 Depth=3
                                        ; =>      This Loop Header: Depth=4
                                        ;           Child Loop BB52_15 Depth 5
	s_and_not1_b32 vcc_lo, exec_lo, s1
	s_cbranch_vccnz .LBB52_11
; %bb.13:                               ;   in Loop: Header=BB52_12 Depth=4
	v_mad_u32 v2, s41, s17, v9
	s_mov_b64 s[64:65], s[62:63]
	s_mov_b32 s74, s34
	s_delay_alu instid0(VALU_DEP_1)
	v_add_nc_u64_e32 v[12:13], v[10:11], v[2:3]
	v_cmp_gt_i32_e32 vcc_lo, 0, v2
	v_cmp_le_i32_e64 s0, s38, v2
	v_mov_b32_e32 v2, v14
	s_or_b32 s0, vcc_lo, s0
	v_mul_u64_e32 v[12:13], s[6:7], v[12:13]
	s_or_b32 s73, s47, s0
	s_delay_alu instid0(VALU_DEP_1)
	v_lshl_add_u64 v[12:13], v[12:13], 1, s[8:9]
	s_branch .LBB52_15
.LBB52_14:                              ;   in Loop: Header=BB52_15 Depth=5
	s_or_b32 exec_lo, exec_lo, s0
	v_add_nc_u32_e32 v2, s18, v2
	s_add_co_i32 s74, s74, -1
	s_add_nc_u64 s[64:65], s[64:65], 2
	s_cmp_eq_u32 s74, 0
	s_cbranch_scc1 .LBB52_11
.LBB52_15:                              ;   Parent Loop BB52_3 Depth=1
                                        ;     Parent Loop BB52_6 Depth=2
                                        ;       Parent Loop BB52_9 Depth=3
                                        ;         Parent Loop BB52_12 Depth=4
                                        ; =>        This Inner Loop Header: Depth=5
	v_cmp_gt_i32_e32 vcc_lo, 0, v2
	v_cmp_le_i32_e64 s0, s6, v2
	s_or_b32 s0, vcc_lo, s0
	s_delay_alu instid0(SALU_CYCLE_1) | instskip(NEXT) | instid1(SALU_CYCLE_1)
	s_nor_b32 s75, s73, s0
	s_and_saveexec_b32 s0, s75
	s_cbranch_execz .LBB52_14
; %bb.16:                               ;   in Loop: Header=BB52_15 Depth=5
	v_lshl_add_u64 v[16:17], v[2:3], 1, v[12:13]
	s_load_u16 s75, s[64:65], 0x0
	global_load_u16 v15, v[16:17], off
	s_wait_kmcnt 0x0
	s_lshl_b32 s75, s75, 16
	s_wait_xcnt 0x0
	v_cvt_f64_f32_e32 v[16:17], s75
	s_wait_loadcnt 0x0
	v_lshlrev_b32_e32 v15, 16, v15
	s_delay_alu instid0(VALU_DEP_1) | instskip(NEXT) | instid1(VALU_DEP_1)
	v_cvt_f64_f32_e32 v[18:19], v15
	v_fmac_f64_e32 v[4:5], v[18:19], v[16:17]
	s_branch .LBB52_14
.LBB52_17:                              ;   in Loop: Header=BB52_3 Depth=1
	v_mov_b64_e32 v[4:5], 0
.LBB52_18:                              ;   in Loop: Header=BB52_3 Depth=1
	s_delay_alu instid0(VALU_DEP_3) | instskip(SKIP_2) | instid1(VALU_DEP_1)
	v_dual_ashrrev_i32 v9, 31, v8 :: v_dual_ashrrev_i32 v7, 31, v6
	s_and_b32 vcc_lo, exec_lo, s70
	s_mov_b32 s0, -1
	v_mad_nc_i64_i32 v[8:9], v1, s42, v[8:9]
	s_delay_alu instid0(VALU_DEP_1) | instskip(NEXT) | instid1(VALU_DEP_1)
	v_mad_nc_u64_u32 v[6:7], v8, s44, v[6:7]
	v_mad_u32 v1, v9, s44, v7
	s_delay_alu instid0(VALU_DEP_1) | instskip(NEXT) | instid1(VALU_DEP_1)
	v_mad_u32 v7, v8, s45, v1
	v_lshl_add_u64 v[6:7], v[6:7], 1, s[10:11]
	s_cbranch_vccz .LBB52_20
; %bb.19:                               ;   in Loop: Header=BB52_3 Depth=1
	global_load_u16 v1, v[6:7], off
	s_wait_loadcnt 0x0
	v_lshlrev_b32_e32 v1, 16, v1
	s_delay_alu instid0(VALU_DEP_1) | instskip(NEXT) | instid1(VALU_DEP_1)
	v_cvt_f64_f32_e32 v[8:9], v1
	v_mul_f64_e32 v[8:9], s[26:27], v[8:9]
	s_delay_alu instid0(VALU_DEP_1) | instskip(NEXT) | instid1(VALU_DEP_1)
	v_fmac_f64_e32 v[8:9], s[24:25], v[4:5]
	v_cvt_f32_f64_e32 v1, v[8:9]
	s_delay_alu instid0(VALU_DEP_1) | instskip(SKIP_2) | instid1(VALU_DEP_3)
	v_and_b32_e32 v2, 0x7f800000, v1
	v_and_b32_e32 v8, 0xffff, v1
	v_lshrrev_b32_e32 v1, 16, v1
	v_cmp_eq_u32_e32 vcc_lo, 0x7f800000, v2
	s_delay_alu instid0(VALU_DEP_3) | instskip(SKIP_1) | instid1(SALU_CYCLE_1)
	v_cmp_ne_u32_e64 s0, 0, v8
	s_and_b32 s0, vcc_lo, s0
	v_cndmask_b32_e64 v2, 0, 1, s0
	s_mov_b32 s0, 0
	s_delay_alu instid0(VALU_DEP_1)
	v_or_b32_e32 v1, v1, v2
	global_store_b16 v[6:7], v1, off
.LBB52_20:                              ;   in Loop: Header=BB52_3 Depth=1
	s_and_not1_b32 vcc_lo, exec_lo, s0
	s_cbranch_vccnz .LBB52_2
; %bb.21:                               ;   in Loop: Header=BB52_3 Depth=1
	s_wait_xcnt 0x0
	v_cvt_f32_f64_e32 v1, v[4:5]
	s_delay_alu instid0(VALU_DEP_1) | instskip(SKIP_2) | instid1(VALU_DEP_3)
	v_and_b32_e32 v2, 0x7f800000, v1
	v_and_b32_e32 v4, 0xffff, v1
	v_lshrrev_b32_e32 v1, 16, v1
	v_cmp_eq_u32_e32 vcc_lo, 0x7f800000, v2
	s_delay_alu instid0(VALU_DEP_3) | instskip(SKIP_1) | instid1(SALU_CYCLE_1)
	v_cmp_ne_u32_e64 s0, 0, v4
	s_and_b32 s0, vcc_lo, s0
	v_cndmask_b32_e64 v2, 0, 1, s0
	s_delay_alu instid0(VALU_DEP_1)
	v_or_b32_e32 v1, v1, v2
	global_store_b16 v[6:7], v1, off
	s_branch .LBB52_2
.LBB52_22:
	s_endpgm
	.section	.rodata,"a",@progbits
	.p2align	6, 0x0
	.amdhsa_kernel naive_conv_ab_packed_fwd_ncdhw_ushort_double_ushort
		.amdhsa_group_segment_fixed_size 0
		.amdhsa_private_segment_fixed_size 0
		.amdhsa_kernarg_size 528
		.amdhsa_user_sgpr_count 2
		.amdhsa_user_sgpr_dispatch_ptr 0
		.amdhsa_user_sgpr_queue_ptr 0
		.amdhsa_user_sgpr_kernarg_segment_ptr 1
		.amdhsa_user_sgpr_dispatch_id 0
		.amdhsa_user_sgpr_kernarg_preload_length 0
		.amdhsa_user_sgpr_kernarg_preload_offset 0
		.amdhsa_user_sgpr_private_segment_size 0
		.amdhsa_wavefront_size32 1
		.amdhsa_uses_dynamic_stack 0
		.amdhsa_enable_private_segment 0
		.amdhsa_system_sgpr_workgroup_id_x 1
		.amdhsa_system_sgpr_workgroup_id_y 0
		.amdhsa_system_sgpr_workgroup_id_z 0
		.amdhsa_system_sgpr_workgroup_info 0
		.amdhsa_system_vgpr_workitem_id 0
		.amdhsa_next_free_vgpr 20
		.amdhsa_next_free_sgpr 76
		.amdhsa_named_barrier_count 0
		.amdhsa_reserve_vcc 1
		.amdhsa_float_round_mode_32 0
		.amdhsa_float_round_mode_16_64 0
		.amdhsa_float_denorm_mode_32 3
		.amdhsa_float_denorm_mode_16_64 3
		.amdhsa_fp16_overflow 0
		.amdhsa_memory_ordered 1
		.amdhsa_forward_progress 1
		.amdhsa_inst_pref_size 16
		.amdhsa_round_robin_scheduling 0
		.amdhsa_exception_fp_ieee_invalid_op 0
		.amdhsa_exception_fp_denorm_src 0
		.amdhsa_exception_fp_ieee_div_zero 0
		.amdhsa_exception_fp_ieee_overflow 0
		.amdhsa_exception_fp_ieee_underflow 0
		.amdhsa_exception_fp_ieee_inexact 0
		.amdhsa_exception_int_div_zero 0
	.end_amdhsa_kernel
	.text
.Lfunc_end52:
	.size	naive_conv_ab_packed_fwd_ncdhw_ushort_double_ushort, .Lfunc_end52-naive_conv_ab_packed_fwd_ncdhw_ushort_double_ushort
                                        ; -- End function
	.set naive_conv_ab_packed_fwd_ncdhw_ushort_double_ushort.num_vgpr, 20
	.set naive_conv_ab_packed_fwd_ncdhw_ushort_double_ushort.num_agpr, 0
	.set naive_conv_ab_packed_fwd_ncdhw_ushort_double_ushort.numbered_sgpr, 76
	.set naive_conv_ab_packed_fwd_ncdhw_ushort_double_ushort.num_named_barrier, 0
	.set naive_conv_ab_packed_fwd_ncdhw_ushort_double_ushort.private_seg_size, 0
	.set naive_conv_ab_packed_fwd_ncdhw_ushort_double_ushort.uses_vcc, 1
	.set naive_conv_ab_packed_fwd_ncdhw_ushort_double_ushort.uses_flat_scratch, 0
	.set naive_conv_ab_packed_fwd_ncdhw_ushort_double_ushort.has_dyn_sized_stack, 0
	.set naive_conv_ab_packed_fwd_ncdhw_ushort_double_ushort.has_recursion, 0
	.set naive_conv_ab_packed_fwd_ncdhw_ushort_double_ushort.has_indirect_call, 0
	.section	.AMDGPU.csdata,"",@progbits
; Kernel info:
; codeLenInByte = 1968
; TotalNumSgprs: 78
; NumVgprs: 20
; ScratchSize: 0
; MemoryBound: 0
; FloatMode: 240
; IeeeMode: 1
; LDSByteSize: 0 bytes/workgroup (compile time only)
; SGPRBlocks: 0
; VGPRBlocks: 1
; NumSGPRsForWavesPerEU: 78
; NumVGPRsForWavesPerEU: 20
; NamedBarCnt: 0
; Occupancy: 16
; WaveLimiterHint : 1
; COMPUTE_PGM_RSRC2:SCRATCH_EN: 0
; COMPUTE_PGM_RSRC2:USER_SGPR: 2
; COMPUTE_PGM_RSRC2:TRAP_HANDLER: 0
; COMPUTE_PGM_RSRC2:TGID_X_EN: 1
; COMPUTE_PGM_RSRC2:TGID_Y_EN: 0
; COMPUTE_PGM_RSRC2:TGID_Z_EN: 0
; COMPUTE_PGM_RSRC2:TIDIG_COMP_CNT: 0
	.text
	.protected	naive_conv_ab_nonpacked_fwd_ncdhw_ushort_double_ushort ; -- Begin function naive_conv_ab_nonpacked_fwd_ncdhw_ushort_double_ushort
	.globl	naive_conv_ab_nonpacked_fwd_ncdhw_ushort_double_ushort
	.p2align	8
	.type	naive_conv_ab_nonpacked_fwd_ncdhw_ushort_double_ushort,@function
naive_conv_ab_nonpacked_fwd_ncdhw_ushort_double_ushort: ; @naive_conv_ab_nonpacked_fwd_ncdhw_ushort_double_ushort
; %bb.0:
	s_load_b512 s[4:19], s[0:1], 0xb8
	s_bfe_u32 s2, ttmp6, 0x4000c
	s_and_b32 s3, ttmp6, 15
	s_add_co_i32 s2, s2, 1
	s_getreg_b32 s20, hwreg(HW_REG_IB_STS2, 6, 4)
	s_mul_i32 s2, ttmp9, s2
	s_delay_alu instid0(SALU_CYCLE_1)
	s_add_co_i32 s3, s3, s2
	s_cmp_eq_u32 s20, 0
	s_cselect_b32 s20, ttmp9, s3
	s_wait_kmcnt 0x0
	s_abs_i32 s3, s8
	s_mul_i32 s80, s12, s11
	s_cvt_f32_u32 s2, s3
	s_delay_alu instid0(SALU_CYCLE_3) | instskip(SKIP_1) | instid1(TRANS32_DEP_1)
	v_rcp_iflag_f32_e32 v1, s2
	v_nop
	v_readfirstlane_b32 s2, v1
	s_mul_f32 s2, s2, 0x4f7ffffe
	s_delay_alu instid0(SALU_CYCLE_3) | instskip(SKIP_1) | instid1(SALU_CYCLE_2)
	s_cvt_u32_f32 s21, s2
	s_sub_co_i32 s2, 0, s3
	s_mul_i32 s2, s2, s21
	s_delay_alu instid0(SALU_CYCLE_1) | instskip(SKIP_2) | instid1(SALU_CYCLE_1)
	s_mul_hi_u32 s22, s21, s2
	s_abs_i32 s2, s20
	s_add_co_i32 s21, s21, s22
	s_mul_hi_u32 s21, s2, s21
	s_delay_alu instid0(SALU_CYCLE_1) | instskip(SKIP_2) | instid1(SALU_CYCLE_1)
	s_mul_i32 s22, s21, s3
	s_add_co_i32 s23, s21, 1
	s_sub_co_i32 s22, s2, s22
	s_sub_co_i32 s24, s22, s3
	s_cmp_ge_u32 s22, s3
	s_cselect_b32 s23, s23, s21
	s_cselect_b32 s21, s24, s22
	s_add_co_i32 s22, s23, 1
	s_cmp_ge_u32 s21, s3
	s_mul_i32 s21, s8, s7
	s_cselect_b32 s22, s22, s23
	s_abs_i32 s29, s7
	s_abs_i32 s28, s21
	s_cvt_f32_u32 s3, s29
	s_cvt_f32_u32 s7, s28
	s_mov_b32 s24, exec_lo
	s_delay_alu instid0(SALU_CYCLE_1) | instskip(NEXT) | instid1(SALU_CYCLE_1)
	v_rcp_iflag_f32_e32 v1, s3
	v_rcp_iflag_f32_e32 v2, s7
	s_mul_i32 s7, s80, s10
	s_mov_b32 s3, 0
	s_delay_alu instid0(TRANS32_DEP_2) | instskip(NEXT) | instid1(TRANS32_DEP_1)
	v_readfirstlane_b32 s23, v1
	v_readfirstlane_b32 s10, v2
	v_cmpx_gt_i32_e64 s7, v0
	s_cbranch_execz .LBB53_22
; %bb.1:
	s_ashr_i32 s33, s20, 31
	s_ashr_i32 s24, s8, 31
	s_mul_f32 s23, s23, 0x4f7ffffe
	s_xor_b32 s24, s33, s24
	s_mul_f32 s10, s10, 0x4f7ffffe
	s_xor_b32 s22, s22, s24
	s_cvt_u32_f32 s23, s23
	s_sub_co_i32 s26, s22, s24
	s_sub_co_i32 s22, 0, s29
	s_cvt_u32_f32 s10, s10
	s_mul_i32 s22, s22, s23
	s_sub_co_i32 s27, 0, s28
	s_mul_hi_u32 s24, s23, s22
	s_abs_i32 s22, s26
	s_add_co_i32 s24, s23, s24
	s_mov_b32 s23, s3
	s_mov_b32 s25, s3
	s_mul_i32 s27, s27, s10
	s_mul_u64 s[24:25], s[22:23], s[24:25]
	s_mul_hi_u32 s23, s10, s27
	s_ashr_i32 s34, s26, 31
	s_add_co_i32 s30, s10, s23
	s_mul_i32 s10, s25, s29
	s_mul_i32 s26, s26, s8
	s_sub_co_i32 s8, s22, s10
	s_ashr_i32 s35, s21, 31
	s_sub_co_i32 s68, s20, s26
	s_sub_co_i32 s10, s8, s29
	s_cmp_ge_u32 s8, s29
	s_mov_b32 s31, s3
	s_cselect_b32 s8, s10, s8
	s_mul_u64 s[30:31], s[2:3], s[30:31]
	s_sub_co_i32 s10, s8, s29
	s_cmp_ge_u32 s8, s29
	s_load_b256 s[20:27], s[0:1], 0x0
	s_cselect_b32 s8, s10, s8
	s_xor_b32 s10, s33, s35
	s_xor_b32 s8, s8, s34
	s_load_b512 s[36:51], s[0:1], 0x28
	s_sub_co_i32 s34, s8, s34
	s_mul_i32 s8, s31, s28
	s_load_b128 s[72:75], s[0:1], 0xa8
	s_sub_co_i32 s2, s2, s8
	s_add_co_i32 s8, s31, 1
	s_sub_co_i32 s29, s2, s28
	s_cmp_ge_u32 s2, s28
	s_load_b512 s[52:67], s[0:1], 0x68
	s_cselect_b32 s8, s8, s31
	s_cselect_b32 s2, s29, s2
	s_add_co_i32 s29, s8, 1
	s_cmp_ge_u32 s2, s28
	s_load_b64 s[78:79], s[0:1], 0x20
	s_cselect_b32 s2, s29, s8
	s_clause 0x1
	s_load_b128 s[28:31], s[0:1], 0xf8
	s_load_b32 s8, s[0:1], 0x108
	s_xor_b32 s2, s2, s10
	s_wait_kmcnt 0x0
	v_cmp_neq_f64_e64 s81, s[26:27], 0
	s_sub_co_i32 s70, s2, s10
	v_cmp_neq_f64_e64 s2, s[24:25], 1.0
	s_ashr_i32 s35, s34, 31
	s_ashr_i32 s71, s70, 31
	;; [unrolled: 1-line block ×3, first 2 shown]
	s_mul_u64 s[46:47], s[46:47], s[34:35]
	s_mul_u64 s[44:45], s[44:45], s[70:71]
	;; [unrolled: 1-line block ×5, first 2 shown]
	s_lshl_b64 s[46:47], s[46:47], 1
	s_lshl_b64 s[44:45], s[44:45], 1
	;; [unrolled: 1-line block ×5, first 2 shown]
	s_cmp_gt_i32 s9, 0
	s_load_b32 s0, s[0:1], 0x11c
	s_cselect_b32 s33, -1, 0
	s_cmp_gt_i32 s30, 0
	v_mov_b32_e32 v3, 0
	s_cselect_b32 s72, -1, 0
	s_cmp_gt_i32 s31, 0
	s_cselect_b32 s73, -1, 0
	s_cmp_gt_i32 s8, 0
	s_wait_xcnt 0x0
	s_cselect_b32 s1, -1, 0
	s_abs_i32 s74, s12
	s_abs_i32 s75, s11
	s_cvt_f32_u32 s10, s74
	s_lshl_b64 s[54:55], s[54:55], 1
	s_lshl_b64 s[52:53], s[52:53], 1
	;; [unrolled: 1-line block ×3, first 2 shown]
	v_rcp_iflag_f32_e32 v1, s10
	s_add_nc_u64 s[10:11], s[20:21], s[46:47]
	s_cvt_f32_u32 s46, s75
	s_add_nc_u64 s[20:21], s[78:79], s[34:35]
	s_wait_kmcnt 0x0
	s_and_b32 s78, s0, 0xffff
	s_add_nc_u64 s[20:21], s[20:21], s[76:77]
	v_rcp_iflag_f32_e32 v2, s46
	s_abs_i32 s76, s80
	v_readfirstlane_b32 s34, v1
	s_cvt_f32_u32 s35, s76
	s_or_b32 s77, s2, s81
	s_add_nc_u64 s[10:11], s[10:11], s[44:45]
	s_mul_u64 s[46:47], s[56:57], s[68:69]
	s_mul_f32 s2, s34, 0x4f7ffffe
	v_rcp_iflag_f32_e32 v1, s35
	v_readfirstlane_b32 s34, v2
	s_mul_u64 s[56:57], s[58:59], s[70:71]
	s_cvt_u32_f32 s0, s2
	s_sub_co_i32 s2, 0, s74
	s_lshl_b64 s[58:59], s[46:47], 1
	s_mul_f32 s34, s34, 0x4f7ffffe
	v_readfirstlane_b32 s35, v1
	s_mul_i32 s2, s2, s0
	s_lshl_b64 s[56:57], s[56:57], 1
	s_mul_hi_u32 s2, s0, s2
	s_cvt_u32_f32 s44, s34
	s_add_co_i32 s34, s0, s2
	s_sub_co_i32 s0, 0, s75
	s_mul_f32 s2, s35, 0x4f7ffffe
	s_mul_i32 s0, s0, s44
	s_add_nc_u64 s[56:57], s[58:59], s[56:57]
	s_mul_hi_u32 s0, s44, s0
	s_cvt_u32_f32 s2, s2
	s_add_co_i32 s44, s44, s0
	s_sub_co_i32 s0, 0, s76
	s_add_nc_u64 s[20:21], s[20:21], s[66:67]
	s_mul_i32 s0, s0, s2
	s_ashr_i32 s79, s12, 31
	s_mul_hi_u32 s0, s2, s0
	s_mov_b32 s35, s3
	s_mov_b32 s45, s3
	s_ashr_i32 s80, s80, 31
	s_add_co_i32 s46, s2, s0
	s_mov_b32 s47, s3
	s_add_nc_u64 s[22:23], s[22:23], s[56:57]
	s_lshl_b64 s[48:49], s[48:49], 1
	s_mov_b32 s81, 0
	s_branch .LBB53_3
.LBB53_2:                               ;   in Loop: Header=BB53_3 Depth=1
	v_add_nc_u32_e32 v0, s78, v0
	s_delay_alu instid0(VALU_DEP_1)
	v_cmp_le_i32_e32 vcc_lo, s7, v0
	s_or_b32 s81, vcc_lo, s81
	s_wait_xcnt 0x0
	s_and_not1_b32 exec_lo, exec_lo, s81
	s_cbranch_execz .LBB53_22
.LBB53_3:                               ; =>This Loop Header: Depth=1
                                        ;     Child Loop BB53_6 Depth 2
                                        ;       Child Loop BB53_9 Depth 3
                                        ;         Child Loop BB53_12 Depth 4
                                        ;           Child Loop BB53_15 Depth 5
	v_dual_sub_nc_u32 v1, 0, v0 :: v_dual_ashrrev_i32 v10, 31, v0
	s_delay_alu instid0(VALU_DEP_1) | instskip(NEXT) | instid1(VALU_DEP_1)
	v_max_i32_e32 v2, v0, v1
	v_mul_u64_e32 v[4:5], s[34:35], v[2:3]
	s_delay_alu instid0(VALU_DEP_1) | instskip(SKIP_1) | instid1(VALU_DEP_2)
	v_mul_lo_u32 v1, v5, s74
	v_add_nc_u32_e32 v4, 1, v5
	v_sub_nc_u32_e32 v1, v2, v1
	s_delay_alu instid0(VALU_DEP_1) | instskip(SKIP_1) | instid1(VALU_DEP_4)
	v_subrev_nc_u32_e32 v6, s74, v1
	v_cmp_le_u32_e32 vcc_lo, s74, v1
	v_cndmask_b32_e32 v4, v5, v4, vcc_lo
	s_delay_alu instid0(VALU_DEP_3) | instskip(SKIP_1) | instid1(VALU_DEP_3)
	v_cndmask_b32_e32 v1, v1, v6, vcc_lo
	v_mul_u64_e32 v[8:9], s[46:47], v[2:3]
	v_add_nc_u32_e32 v5, 1, v4
	s_delay_alu instid0(VALU_DEP_3) | instskip(NEXT) | instid1(VALU_DEP_2)
	v_cmp_le_u32_e32 vcc_lo, s74, v1
	v_dual_cndmask_b32 v1, v4, v5, vcc_lo :: v_dual_bitop2_b32 v6, s79, v10 bitop3:0x14
	s_delay_alu instid0(VALU_DEP_1) | instskip(NEXT) | instid1(VALU_DEP_1)
	v_dual_mov_b32 v5, v3 :: v_dual_bitop2_b32 v1, v1, v6 bitop3:0x14
	v_sub_nc_u32_e32 v1, v1, v6
	s_delay_alu instid0(VALU_DEP_1) | instskip(NEXT) | instid1(VALU_DEP_1)
	v_sub_nc_u32_e32 v4, 0, v1
	v_max_i32_e32 v4, v1, v4
	s_delay_alu instid0(VALU_DEP_1) | instskip(SKIP_1) | instid1(VALU_DEP_1)
	v_mul_u64_e32 v[6:7], s[44:45], v[4:5]
	v_mul_lo_u32 v6, v9, s76
	v_dual_sub_nc_u32 v2, v2, v6 :: v_dual_add_nc_u32 v6, 1, v9
	s_delay_alu instid0(VALU_DEP_1) | instskip(NEXT) | instid1(VALU_DEP_4)
	v_cmp_le_u32_e32 vcc_lo, s76, v2
	v_mul_lo_u32 v5, v7, s75
	v_subrev_nc_u32_e32 v7, s76, v2
	s_delay_alu instid0(VALU_DEP_1) | instskip(NEXT) | instid1(VALU_DEP_3)
	v_dual_cndmask_b32 v2, v2, v7, vcc_lo :: v_dual_bitop2_b32 v8, s80, v10 bitop3:0x14
	v_sub_nc_u32_e32 v4, v4, v5
	s_delay_alu instid0(VALU_DEP_1) | instskip(SKIP_1) | instid1(VALU_DEP_1)
	v_subrev_nc_u32_e32 v5, s75, v4
	v_cmp_le_u32_e64 s0, s75, v4
	v_dual_cndmask_b32 v4, v4, v5, s0 :: v_dual_cndmask_b32 v5, v9, v6, vcc_lo
	v_mul_lo_u32 v9, v1, s12
	s_delay_alu instid0(VALU_DEP_2) | instskip(SKIP_1) | instid1(VALU_DEP_2)
	v_subrev_nc_u32_e32 v6, s75, v4
	v_cmp_le_u32_e32 vcc_lo, s75, v4
	v_dual_cndmask_b32 v4, v4, v6 :: v_dual_add_nc_u32 v7, 1, v5
	v_cmp_le_u32_e32 vcc_lo, s76, v2
	v_ashrrev_i32_e32 v1, 31, v1
	s_delay_alu instid0(VALU_DEP_3) | instskip(SKIP_1) | instid1(VALU_DEP_1)
	v_dual_sub_nc_u32 v6, v0, v9 :: v_dual_cndmask_b32 v2, v5, v7, vcc_lo
	s_and_not1_b32 vcc_lo, exec_lo, s33
	v_xor_b32_e32 v2, v2, v8
	s_delay_alu instid0(VALU_DEP_3) | instskip(NEXT) | instid1(VALU_DEP_1)
	v_xor_b32_e32 v4, v4, v1
	v_dual_sub_nc_u32 v12, v4, v1 :: v_dual_sub_nc_u32 v1, v2, v8
	s_cbranch_vccnz .LBB53_17
; %bb.4:                                ;   in Loop: Header=BB53_3 Depth=1
	s_delay_alu instid0(VALU_DEP_1) | instskip(NEXT) | instid1(VALU_DEP_2)
	v_mul_lo_u32 v2, v1, s13
	v_mul_lo_u32 v8, v12, s14
	;; [unrolled: 1-line block ×3, first 2 shown]
	v_mov_b64_e32 v[4:5], 0
	s_mov_b32 s2, 0
	s_mov_b64 s[56:57], s[22:23]
	s_delay_alu instid0(VALU_DEP_4) | instskip(NEXT) | instid1(VALU_DEP_4)
	v_subrev_nc_u32_e32 v7, s19, v2
	v_subrev_nc_u32_e32 v13, s28, v8
	s_delay_alu instid0(VALU_DEP_4)
	v_subrev_nc_u32_e32 v14, s29, v9
	s_branch .LBB53_6
.LBB53_5:                               ;   in Loop: Header=BB53_6 Depth=2
	s_add_co_i32 s2, s2, 1
	s_add_nc_u64 s[56:57], s[56:57], s[54:55]
	s_cmp_eq_u32 s2, s9
	s_cbranch_scc1 .LBB53_18
.LBB53_6:                               ;   Parent Loop BB53_3 Depth=1
                                        ; =>  This Loop Header: Depth=2
                                        ;       Child Loop BB53_9 Depth 3
                                        ;         Child Loop BB53_12 Depth 4
                                        ;           Child Loop BB53_15 Depth 5
	s_and_not1_b32 vcc_lo, exec_lo, s72
	s_cbranch_vccnz .LBB53_5
; %bb.7:                                ;   in Loop: Header=BB53_6 Depth=2
	s_mul_u64 s[58:59], s[42:43], s[2:3]
	s_mov_b32 s82, 0
	s_lshl_b64 s[58:59], s[58:59], 1
	s_mov_b64 s[66:67], s[56:57]
	s_add_nc_u64 s[58:59], s[10:11], s[58:59]
	s_branch .LBB53_9
.LBB53_8:                               ;   in Loop: Header=BB53_9 Depth=3
	s_add_co_i32 s82, s82, 1
	s_add_nc_u64 s[66:67], s[66:67], s[52:53]
	s_cmp_eq_u32 s82, s30
	s_cbranch_scc1 .LBB53_5
.LBB53_9:                               ;   Parent Loop BB53_3 Depth=1
                                        ;     Parent Loop BB53_6 Depth=2
                                        ; =>    This Loop Header: Depth=3
                                        ;         Child Loop BB53_12 Depth 4
                                        ;           Child Loop BB53_15 Depth 5
	s_and_not1_b32 vcc_lo, exec_lo, s73
	s_cbranch_vccnz .LBB53_8
; %bb.10:                               ;   in Loop: Header=BB53_9 Depth=3
	v_mad_u32 v2, s82, s16, v7
	s_mov_b32 s83, 0
	s_mov_b64 s[68:69], s[66:67]
	s_delay_alu instid0(VALU_DEP_1)
	v_mul_u64_e32 v[8:9], s[40:41], v[2:3]
	v_cmp_gt_i32_e32 vcc_lo, 0, v2
	v_cmp_le_i32_e64 s0, s4, v2
	s_or_b32 s84, vcc_lo, s0
	v_lshl_add_u64 v[8:9], v[8:9], 1, s[58:59]
	s_branch .LBB53_12
.LBB53_11:                              ;   in Loop: Header=BB53_12 Depth=4
	s_add_co_i32 s83, s83, 1
	s_add_nc_u64 s[68:69], s[68:69], s[50:51]
	s_cmp_eq_u32 s83, s31
	s_cbranch_scc1 .LBB53_8
.LBB53_12:                              ;   Parent Loop BB53_3 Depth=1
                                        ;     Parent Loop BB53_6 Depth=2
                                        ;       Parent Loop BB53_9 Depth=3
                                        ; =>      This Loop Header: Depth=4
                                        ;           Child Loop BB53_15 Depth 5
	s_and_not1_b32 vcc_lo, exec_lo, s1
	s_cbranch_vccnz .LBB53_11
; %bb.13:                               ;   in Loop: Header=BB53_12 Depth=4
	v_mad_u32 v2, s83, s17, v13
	s_mov_b64 s[70:71], s[68:69]
	s_mov_b32 s86, s8
	s_delay_alu instid0(VALU_DEP_1) | instskip(SKIP_4) | instid1(SALU_CYCLE_1)
	v_mul_u64_e32 v[10:11], s[38:39], v[2:3]
	v_cmp_gt_i32_e32 vcc_lo, 0, v2
	v_cmp_le_i32_e64 s0, s5, v2
	v_mov_b32_e32 v2, v14
	s_or_b32 s0, vcc_lo, s0
	s_or_b32 s85, s84, s0
	v_lshl_add_u64 v[10:11], v[10:11], 1, v[8:9]
	s_branch .LBB53_15
.LBB53_14:                              ;   in Loop: Header=BB53_15 Depth=5
	s_or_b32 exec_lo, exec_lo, s0
	v_add_nc_u32_e32 v2, s18, v2
	s_add_co_i32 s86, s86, -1
	s_add_nc_u64 s[70:71], s[70:71], s[48:49]
	s_cmp_eq_u32 s86, 0
	s_cbranch_scc1 .LBB53_11
.LBB53_15:                              ;   Parent Loop BB53_3 Depth=1
                                        ;     Parent Loop BB53_6 Depth=2
                                        ;       Parent Loop BB53_9 Depth=3
                                        ;         Parent Loop BB53_12 Depth=4
                                        ; =>        This Inner Loop Header: Depth=5
	v_cmp_gt_i32_e32 vcc_lo, 0, v2
	v_cmp_le_i32_e64 s0, s6, v2
	s_or_b32 s0, vcc_lo, s0
	s_delay_alu instid0(SALU_CYCLE_1) | instskip(NEXT) | instid1(SALU_CYCLE_1)
	s_nor_b32 s87, s85, s0
	s_and_saveexec_b32 s0, s87
	s_cbranch_execz .LBB53_14
; %bb.16:                               ;   in Loop: Header=BB53_15 Depth=5
	v_mul_u64_e32 v[16:17], s[36:37], v[2:3]
	s_load_u16 s87, s[70:71], 0x0
	s_wait_kmcnt 0x0
	s_lshl_b32 s87, s87, 16
	s_delay_alu instid0(VALU_DEP_1)
	v_lshl_add_u64 v[16:17], v[16:17], 1, v[10:11]
	global_load_u16 v15, v[16:17], off
	s_wait_xcnt 0x0
	v_cvt_f64_f32_e32 v[16:17], s87
	s_wait_loadcnt 0x0
	v_lshlrev_b32_e32 v15, 16, v15
	s_delay_alu instid0(VALU_DEP_1) | instskip(NEXT) | instid1(VALU_DEP_1)
	v_cvt_f64_f32_e32 v[18:19], v15
	v_fmac_f64_e32 v[4:5], v[18:19], v[16:17]
	s_branch .LBB53_14
.LBB53_17:                              ;   in Loop: Header=BB53_3 Depth=1
	v_mov_b64_e32 v[4:5], 0
.LBB53_18:                              ;   in Loop: Header=BB53_3 Depth=1
	v_ashrrev_i32_e32 v7, 31, v6
	s_and_b32 vcc_lo, exec_lo, s77
	s_mov_b32 s0, -1
	s_delay_alu instid0(VALU_DEP_1) | instskip(NEXT) | instid1(VALU_DEP_1)
	v_mul_u64_e32 v[6:7], s[60:61], v[6:7]
	v_mad_nc_u64_u32 v[6:7], s62, v12, v[6:7]
	s_delay_alu instid0(VALU_DEP_1) | instskip(SKIP_1) | instid1(VALU_DEP_1)
	v_mad_u32 v2, s63, v12, v7
	v_ashrrev_i32_e32 v7, 31, v12
	v_mad_u32 v7, s62, v7, v2
	s_delay_alu instid0(VALU_DEP_1) | instskip(NEXT) | instid1(VALU_DEP_1)
	v_mad_nc_u64_u32 v[6:7], s64, v1, v[6:7]
	v_mad_u32 v2, s65, v1, v7
	v_ashrrev_i32_e32 v1, 31, v1
	s_delay_alu instid0(VALU_DEP_1) | instskip(NEXT) | instid1(VALU_DEP_1)
	v_mad_u32 v7, s64, v1, v2
	v_lshl_add_u64 v[6:7], v[6:7], 1, s[20:21]
	s_cbranch_vccz .LBB53_20
; %bb.19:                               ;   in Loop: Header=BB53_3 Depth=1
	global_load_u16 v1, v[6:7], off
	s_wait_loadcnt 0x0
	v_lshlrev_b32_e32 v1, 16, v1
	s_delay_alu instid0(VALU_DEP_1) | instskip(NEXT) | instid1(VALU_DEP_1)
	v_cvt_f64_f32_e32 v[8:9], v1
	v_mul_f64_e32 v[8:9], s[26:27], v[8:9]
	s_delay_alu instid0(VALU_DEP_1) | instskip(NEXT) | instid1(VALU_DEP_1)
	v_fmac_f64_e32 v[8:9], s[24:25], v[4:5]
	v_cvt_f32_f64_e32 v1, v[8:9]
	s_delay_alu instid0(VALU_DEP_1) | instskip(SKIP_2) | instid1(VALU_DEP_3)
	v_and_b32_e32 v2, 0x7f800000, v1
	v_and_b32_e32 v8, 0xffff, v1
	v_lshrrev_b32_e32 v1, 16, v1
	v_cmp_eq_u32_e32 vcc_lo, 0x7f800000, v2
	s_delay_alu instid0(VALU_DEP_3) | instskip(SKIP_1) | instid1(SALU_CYCLE_1)
	v_cmp_ne_u32_e64 s0, 0, v8
	s_and_b32 s0, vcc_lo, s0
	v_cndmask_b32_e64 v2, 0, 1, s0
	s_mov_b32 s0, 0
	s_delay_alu instid0(VALU_DEP_1)
	v_or_b32_e32 v1, v1, v2
	global_store_b16 v[6:7], v1, off
.LBB53_20:                              ;   in Loop: Header=BB53_3 Depth=1
	s_and_not1_b32 vcc_lo, exec_lo, s0
	s_cbranch_vccnz .LBB53_2
; %bb.21:                               ;   in Loop: Header=BB53_3 Depth=1
	s_wait_xcnt 0x0
	v_cvt_f32_f64_e32 v1, v[4:5]
	s_delay_alu instid0(VALU_DEP_1) | instskip(SKIP_2) | instid1(VALU_DEP_3)
	v_and_b32_e32 v2, 0x7f800000, v1
	v_and_b32_e32 v4, 0xffff, v1
	v_lshrrev_b32_e32 v1, 16, v1
	v_cmp_eq_u32_e32 vcc_lo, 0x7f800000, v2
	s_delay_alu instid0(VALU_DEP_3) | instskip(SKIP_1) | instid1(SALU_CYCLE_1)
	v_cmp_ne_u32_e64 s0, 0, v4
	s_and_b32 s0, vcc_lo, s0
	v_cndmask_b32_e64 v2, 0, 1, s0
	s_delay_alu instid0(VALU_DEP_1)
	v_or_b32_e32 v1, v1, v2
	global_store_b16 v[6:7], v1, off
	s_branch .LBB53_2
.LBB53_22:
	s_endpgm
	.section	.rodata,"a",@progbits
	.p2align	6, 0x0
	.amdhsa_kernel naive_conv_ab_nonpacked_fwd_ncdhw_ushort_double_ushort
		.amdhsa_group_segment_fixed_size 0
		.amdhsa_private_segment_fixed_size 0
		.amdhsa_kernarg_size 528
		.amdhsa_user_sgpr_count 2
		.amdhsa_user_sgpr_dispatch_ptr 0
		.amdhsa_user_sgpr_queue_ptr 0
		.amdhsa_user_sgpr_kernarg_segment_ptr 1
		.amdhsa_user_sgpr_dispatch_id 0
		.amdhsa_user_sgpr_kernarg_preload_length 0
		.amdhsa_user_sgpr_kernarg_preload_offset 0
		.amdhsa_user_sgpr_private_segment_size 0
		.amdhsa_wavefront_size32 1
		.amdhsa_uses_dynamic_stack 0
		.amdhsa_enable_private_segment 0
		.amdhsa_system_sgpr_workgroup_id_x 1
		.amdhsa_system_sgpr_workgroup_id_y 0
		.amdhsa_system_sgpr_workgroup_id_z 0
		.amdhsa_system_sgpr_workgroup_info 0
		.amdhsa_system_vgpr_workitem_id 0
		.amdhsa_next_free_vgpr 20
		.amdhsa_next_free_sgpr 88
		.amdhsa_named_barrier_count 0
		.amdhsa_reserve_vcc 1
		.amdhsa_float_round_mode_32 0
		.amdhsa_float_round_mode_16_64 0
		.amdhsa_float_denorm_mode_32 3
		.amdhsa_float_denorm_mode_16_64 3
		.amdhsa_fp16_overflow 0
		.amdhsa_memory_ordered 1
		.amdhsa_forward_progress 1
		.amdhsa_inst_pref_size 16
		.amdhsa_round_robin_scheduling 0
		.amdhsa_exception_fp_ieee_invalid_op 0
		.amdhsa_exception_fp_denorm_src 0
		.amdhsa_exception_fp_ieee_div_zero 0
		.amdhsa_exception_fp_ieee_overflow 0
		.amdhsa_exception_fp_ieee_underflow 0
		.amdhsa_exception_fp_ieee_inexact 0
		.amdhsa_exception_int_div_zero 0
	.end_amdhsa_kernel
	.text
.Lfunc_end53:
	.size	naive_conv_ab_nonpacked_fwd_ncdhw_ushort_double_ushort, .Lfunc_end53-naive_conv_ab_nonpacked_fwd_ncdhw_ushort_double_ushort
                                        ; -- End function
	.set naive_conv_ab_nonpacked_fwd_ncdhw_ushort_double_ushort.num_vgpr, 20
	.set naive_conv_ab_nonpacked_fwd_ncdhw_ushort_double_ushort.num_agpr, 0
	.set naive_conv_ab_nonpacked_fwd_ncdhw_ushort_double_ushort.numbered_sgpr, 88
	.set naive_conv_ab_nonpacked_fwd_ncdhw_ushort_double_ushort.num_named_barrier, 0
	.set naive_conv_ab_nonpacked_fwd_ncdhw_ushort_double_ushort.private_seg_size, 0
	.set naive_conv_ab_nonpacked_fwd_ncdhw_ushort_double_ushort.uses_vcc, 1
	.set naive_conv_ab_nonpacked_fwd_ncdhw_ushort_double_ushort.uses_flat_scratch, 0
	.set naive_conv_ab_nonpacked_fwd_ncdhw_ushort_double_ushort.has_dyn_sized_stack, 0
	.set naive_conv_ab_nonpacked_fwd_ncdhw_ushort_double_ushort.has_recursion, 0
	.set naive_conv_ab_nonpacked_fwd_ncdhw_ushort_double_ushort.has_indirect_call, 0
	.section	.AMDGPU.csdata,"",@progbits
; Kernel info:
; codeLenInByte = 1928
; TotalNumSgprs: 90
; NumVgprs: 20
; ScratchSize: 0
; MemoryBound: 0
; FloatMode: 240
; IeeeMode: 1
; LDSByteSize: 0 bytes/workgroup (compile time only)
; SGPRBlocks: 0
; VGPRBlocks: 1
; NumSGPRsForWavesPerEU: 90
; NumVGPRsForWavesPerEU: 20
; NamedBarCnt: 0
; Occupancy: 16
; WaveLimiterHint : 1
; COMPUTE_PGM_RSRC2:SCRATCH_EN: 0
; COMPUTE_PGM_RSRC2:USER_SGPR: 2
; COMPUTE_PGM_RSRC2:TRAP_HANDLER: 0
; COMPUTE_PGM_RSRC2:TGID_X_EN: 1
; COMPUTE_PGM_RSRC2:TGID_Y_EN: 0
; COMPUTE_PGM_RSRC2:TGID_Z_EN: 0
; COMPUTE_PGM_RSRC2:TIDIG_COMP_CNT: 0
	.text
	.protected	naive_conv_ab_packed_fwd_ncdhw_int8_t_int32_t_int32_t ; -- Begin function naive_conv_ab_packed_fwd_ncdhw_int8_t_int32_t_int32_t
	.globl	naive_conv_ab_packed_fwd_ncdhw_int8_t_int32_t_int32_t
	.p2align	8
	.type	naive_conv_ab_packed_fwd_ncdhw_int8_t_int32_t_int32_t,@function
naive_conv_ab_packed_fwd_ncdhw_int8_t_int32_t_int32_t: ; @naive_conv_ab_packed_fwd_ncdhw_int8_t_int32_t_int32_t
; %bb.0:
	s_load_b512 s[4:19], s[0:1], 0xb8
	s_bfe_u32 s2, ttmp6, 0x4000c
	s_and_b32 s3, ttmp6, 15
	s_add_co_i32 s2, s2, 1
	s_getreg_b32 s20, hwreg(HW_REG_IB_STS2, 6, 4)
	s_mul_i32 s2, ttmp9, s2
	s_mov_b32 s26, exec_lo
	s_add_co_i32 s3, s3, s2
	s_cmp_eq_u32 s20, 0
	s_cselect_b32 s20, ttmp9, s3
	s_wait_kmcnt 0x0
	s_abs_i32 s3, s8
	s_mul_i32 s52, s12, s11
	s_cvt_f32_u32 s2, s3
	s_mul_i32 s33, s52, s10
	s_delay_alu instid0(SALU_CYCLE_2) | instskip(SKIP_1) | instid1(TRANS32_DEP_1)
	v_rcp_iflag_f32_e32 v1, s2
	v_nop
	v_readfirstlane_b32 s2, v1
	s_mul_f32 s2, s2, 0x4f7ffffe
	s_delay_alu instid0(SALU_CYCLE_3) | instskip(SKIP_1) | instid1(SALU_CYCLE_2)
	s_cvt_u32_f32 s21, s2
	s_sub_co_i32 s2, 0, s3
	s_mul_i32 s2, s2, s21
	s_delay_alu instid0(SALU_CYCLE_1) | instskip(SKIP_2) | instid1(SALU_CYCLE_1)
	s_mul_hi_u32 s22, s21, s2
	s_abs_i32 s2, s20
	s_add_co_i32 s21, s21, s22
	s_mul_hi_u32 s21, s2, s21
	s_delay_alu instid0(SALU_CYCLE_1) | instskip(SKIP_2) | instid1(SALU_CYCLE_1)
	s_mul_i32 s22, s21, s3
	s_add_co_i32 s23, s21, 1
	s_sub_co_i32 s22, s2, s22
	s_sub_co_i32 s24, s22, s3
	s_cmp_ge_u32 s22, s3
	s_cselect_b32 s21, s23, s21
	s_cselect_b32 s22, s24, s22
	s_add_co_i32 s23, s21, 1
	s_cmp_ge_u32 s22, s3
	s_mul_i32 s22, s8, s7
	s_cselect_b32 s24, s23, s21
	s_abs_i32 s21, s7
	s_abs_i32 s7, s22
	s_cvt_f32_u32 s3, s21
	s_cvt_f32_u32 s23, s7
	s_delay_alu instid0(SALU_CYCLE_2) | instskip(NEXT) | instid1(SALU_CYCLE_2)
	v_rcp_iflag_f32_e32 v1, s3
	v_rcp_iflag_f32_e32 v2, s23
	s_mov_b32 s3, 0
	s_delay_alu instid0(TRANS32_DEP_2) | instskip(NEXT) | instid1(TRANS32_DEP_1)
	v_readfirstlane_b32 s25, v1
	v_readfirstlane_b32 s23, v2
	v_cmpx_gt_i32_e64 s33, v0
	s_cbranch_execz .LBB54_21
; %bb.1:
	s_ashr_i32 s28, s20, 31
	s_ashr_i32 s43, s8, 31
	s_mul_f32 s25, s25, 0x4f7ffffe
	s_xor_b32 s26, s28, s43
	s_mul_f32 s23, s23, 0x4f7ffffe
	s_xor_b32 s24, s24, s26
	s_cvt_u32_f32 s25, s25
	s_sub_co_i32 s29, s24, s26
	s_sub_co_i32 s24, 0, s21
	s_cvt_u32_f32 s23, s23
	s_mul_i32 s24, s24, s25
	s_sub_co_i32 s31, 0, s7
	s_mul_hi_u32 s26, s25, s24
	s_abs_i32 s24, s29
	s_add_co_i32 s26, s25, s26
	s_mov_b32 s25, s3
	s_mov_b32 s27, s3
	s_mul_i32 s31, s31, s23
	s_mul_u64 s[26:27], s[24:25], s[26:27]
	s_mul_hi_u32 s25, s23, s31
	s_ashr_i32 s26, s22, 31
	s_add_co_i32 s22, s23, s25
	s_mul_i32 s23, s27, s21
	s_ashr_i32 s30, s29, 31
	s_mul_i32 s29, s29, s8
	s_sub_co_i32 s23, s24, s23
	s_sub_co_i32 s46, s20, s29
	;; [unrolled: 1-line block ×3, first 2 shown]
	s_cmp_ge_u32 s23, s21
	s_clause 0x1
	s_load_b64 s[34:35], s[0:1], 0x108
	s_load_b32 s53, s[0:1], 0x11c
	s_cselect_b32 s20, s20, s23
	s_mov_b32 s42, s8
	s_sub_co_i32 s23, s20, s21
	s_cmp_ge_u32 s20, s21
	s_mov_b32 s62, s10
	s_cselect_b32 s20, s23, s20
	s_mov_b32 s23, s3
	s_xor_b32 s24, s20, s30
	s_mul_u64 s[20:21], s[2:3], s[22:23]
	s_sub_co_i32 s50, s24, s30
	s_mul_i32 s20, s21, s7
	s_xor_b32 s36, s28, s26
	s_sub_co_i32 s2, s2, s20
	s_add_co_i32 s20, s21, 1
	s_sub_co_i32 s22, s2, s7
	s_cmp_ge_u32 s2, s7
	s_clause 0x1
	s_load_b128 s[28:31], s[0:1], 0xf8
	s_load_b64 s[66:67], s[0:1], 0x20
	s_cselect_b32 s37, s20, s21
	s_cselect_b32 s2, s22, s2
	s_load_b256 s[20:27], s[0:1], 0x0
	s_add_co_i32 s38, s37, 1
	s_cmp_ge_u32 s2, s7
	s_wait_kmcnt 0x0
	s_mul_i32 s48, s35, s8
	s_cselect_b32 s2, s38, s37
	s_ashr_i32 s47, s46, 31
	s_xor_b32 s2, s2, s36
	s_ashr_i32 s51, s50, 31
	s_sub_co_i32 s56, s2, s36
	s_ashr_i32 s49, s48, 31
	s_ashr_i32 s57, s56, 31
	;; [unrolled: 1-line block ×3, first 2 shown]
	s_mul_u64 s[58:59], s[56:57], s[42:43]
	s_mul_u64 s[60:61], s[50:51], s[48:49]
	s_add_nc_u64 s[58:59], s[58:59], s[46:47]
	s_ashr_i32 s47, s11, 31
	s_mov_b32 s46, s11
	s_ashr_i32 s49, s12, 31
	s_mov_b32 s48, s12
	s_mul_u64 s[62:63], s[46:47], s[62:63]
	s_add_nc_u64 s[60:61], s[58:59], s[60:61]
	s_mul_u64 s[62:63], s[62:63], s[48:49]
	v_cmp_neq_f64_e64 s2, s[24:25], 1.0
	v_cmp_neq_f64_e64 s10, s[26:27], 0
	s_mul_i32 s54, s35, s9
	s_mul_u64 s[60:61], s[62:63], s[60:61]
	s_ashr_i32 s55, s54, 31
	s_ashr_i32 s37, s4, 31
	;; [unrolled: 1-line block ×8, first 2 shown]
	s_lshl_b64 s[64:65], s[60:61], 2
	s_cmp_gt_i32 s9, 0
	s_mov_b32 s40, s9
	s_cselect_b32 s1, -1, 0
	s_cmp_gt_i32 s30, 0
	s_mul_u64 s[50:51], s[50:51], s[54:55]
	s_cselect_b32 s47, -1, 0
	s_cmp_gt_i32 s31, 0
	s_mov_b32 s36, s4
	s_cselect_b32 s60, -1, 0
	s_cmp_gt_i32 s34, 0
	s_mul_u64 s[8:9], s[56:57], s[40:41]
	s_cselect_b32 s61, -1, 0
	s_abs_i32 s12, s12
	s_abs_i32 s62, s11
	s_cvt_f32_u32 s0, s12
	s_mov_b32 s38, s5
	s_add_nc_u64 s[4:5], s[8:9], s[50:51]
	s_mul_u64 s[8:9], s[38:39], s[36:37]
	v_rcp_iflag_f32_e32 v1, s0
	s_cvt_f32_u32 s0, s62
	s_mul_u64 s[8:9], s[8:9], s[6:7]
	s_or_b32 s63, s2, s10
	s_mul_u64 s[4:5], s[8:9], s[4:5]
	s_add_nc_u64 s[8:9], s[66:67], s[64:65]
	s_abs_i32 s64, s52
	v_nop
	v_readfirstlane_b32 s11, v1
	v_rcp_iflag_f32_e32 v1, s0
	v_cvt_i32_f64_e32 v12, s[26:27]
	s_cvt_f32_u32 s10, s64
	s_add_nc_u64 s[4:5], s[20:21], s[4:5]
	s_mul_f32 s0, s11, 0x4f7ffffe
	s_sub_co_i32 s11, 0, s62
	v_rcp_iflag_f32_e32 v2, s10
	v_readfirstlane_b32 s2, v1
	v_cvt_i32_f64_e32 v1, s[24:25]
	s_cvt_u32_f32 s0, s0
	s_sub_co_i32 s10, 0, s12
	s_mov_b32 s44, s31
	s_mul_f32 s2, s2, 0x4f7ffffe
	v_readfirstlane_b32 s20, v2
	s_mul_i32 s10, s10, s0
	s_mov_b32 s42, s30
	s_cvt_u32_f32 s2, s2
	s_mul_hi_u32 s10, s0, s10
	s_mul_f32 s24, s20, 0x4f7ffffe
	s_add_co_i32 s10, s0, s10
	s_mul_i32 s11, s11, s2
	v_mov_b32_e32 v3, 0
	s_mul_hi_u32 s0, s2, s11
	s_and_b32 s65, s53, 0xffff
	s_add_co_i32 s20, s2, s0
	s_cvt_u32_f32 s0, s24
	s_mul_u64 s[24:25], s[34:35], s[44:45]
	s_sub_co_i32 s2, 0, s64
	s_mul_u64 s[26:27], s[24:25], s[42:43]
	s_mul_i32 s2, s2, s0
	s_mul_u64 s[50:51], s[26:27], s[58:59]
	s_mul_hi_u32 s2, s0, s2
	s_mul_u64 s[50:51], s[50:51], s[40:41]
	s_mov_b32 s11, s3
	s_mov_b32 s21, s3
	s_ashr_i32 s66, s52, 31
	s_add_co_i32 s30, s0, s2
	s_mov_b32 s31, s3
	s_add_nc_u64 s[22:23], s[22:23], s[50:51]
	s_mov_b32 s41, 0
	s_branch .LBB54_3
.LBB54_2:                               ;   in Loop: Header=BB54_3 Depth=1
	v_add_nc_u32_e32 v0, s65, v0
	s_delay_alu instid0(VALU_DEP_1)
	v_cmp_le_i32_e32 vcc_lo, s33, v0
	s_or_b32 s41, vcc_lo, s41
	s_wait_xcnt 0x0
	s_and_not1_b32 exec_lo, exec_lo, s41
	s_cbranch_execz .LBB54_21
.LBB54_3:                               ; =>This Loop Header: Depth=1
                                        ;     Child Loop BB54_6 Depth 2
                                        ;       Child Loop BB54_9 Depth 3
                                        ;         Child Loop BB54_12 Depth 4
                                        ;           Child Loop BB54_15 Depth 5
	v_dual_sub_nc_u32 v2, 0, v0 :: v_dual_ashrrev_i32 v10, 31, v0
	s_delay_alu instid0(VALU_DEP_1) | instskip(NEXT) | instid1(VALU_DEP_1)
	v_dual_mov_b32 v13, v3 :: v_dual_max_i32 v2, v0, v2
	v_mul_u64_e32 v[4:5], s[10:11], v[2:3]
	s_delay_alu instid0(VALU_DEP_1) | instskip(NEXT) | instid1(VALU_DEP_1)
	v_mul_lo_u32 v4, v5, s12
	v_dual_add_nc_u32 v6, 1, v5 :: v_dual_sub_nc_u32 v4, v2, v4
	s_delay_alu instid0(VALU_DEP_1) | instskip(NEXT) | instid1(VALU_DEP_2)
	v_cmp_le_u32_e32 vcc_lo, s12, v4
	v_cndmask_b32_e32 v5, v5, v6, vcc_lo
	v_subrev_nc_u32_e32 v7, s12, v4
	s_delay_alu instid0(VALU_DEP_1) | instskip(SKIP_1) | instid1(VALU_DEP_2)
	v_dual_add_nc_u32 v6, 1, v5 :: v_dual_cndmask_b32 v4, v4, v7, vcc_lo
	v_xor_b32_e32 v7, s49, v10
	v_cmp_le_u32_e32 vcc_lo, s12, v4
	s_delay_alu instid0(VALU_DEP_3) | instskip(NEXT) | instid1(VALU_DEP_1)
	v_dual_cndmask_b32 v4, v5, v6 :: v_dual_mov_b32 v5, v3
	v_xor_b32_e32 v4, v4, v7
	s_delay_alu instid0(VALU_DEP_1) | instskip(SKIP_1) | instid1(VALU_DEP_2)
	v_sub_nc_u32_e32 v11, v4, v7
	v_mul_u64_e32 v[6:7], s[30:31], v[2:3]
	v_sub_nc_u32_e32 v4, 0, v11
	s_delay_alu instid0(VALU_DEP_1) | instskip(NEXT) | instid1(VALU_DEP_1)
	v_max_i32_e32 v4, v11, v4
	v_mul_u64_e32 v[8:9], s[20:21], v[4:5]
	s_delay_alu instid0(VALU_DEP_4) | instskip(NEXT) | instid1(VALU_DEP_1)
	v_mul_lo_u32 v5, v7, s64
	v_dual_sub_nc_u32 v2, v2, v5 :: v_dual_add_nc_u32 v5, 1, v7
	s_delay_alu instid0(VALU_DEP_3) | instskip(NEXT) | instid1(VALU_DEP_2)
	v_mul_lo_u32 v6, v9, s62
	v_cmp_le_u32_e32 vcc_lo, s64, v2
	s_delay_alu instid0(VALU_DEP_2) | instskip(SKIP_2) | instid1(VALU_DEP_3)
	v_sub_nc_u32_e32 v4, v4, v6
	v_subrev_nc_u32_e32 v6, s64, v2
	v_ashrrev_i32_e32 v9, 31, v11
	v_subrev_nc_u32_e32 v8, s62, v4
	v_cmp_le_u32_e64 s0, s62, v4
	v_dual_cndmask_b32 v5, v7, v5, vcc_lo :: v_dual_bitop2_b32 v7, s66, v10 bitop3:0x14
	s_delay_alu instid0(VALU_DEP_2) | instskip(NEXT) | instid1(VALU_DEP_2)
	v_dual_cndmask_b32 v4, v4, v8, s0 :: v_dual_cndmask_b32 v2, v2, v6, vcc_lo
	v_add_nc_u32_e32 v6, 1, v5
	s_delay_alu instid0(VALU_DEP_2) | instskip(NEXT) | instid1(VALU_DEP_3)
	v_subrev_nc_u32_e32 v8, s62, v4
	v_cmp_le_u32_e32 vcc_lo, s64, v2
	s_delay_alu instid0(VALU_DEP_3) | instskip(SKIP_2) | instid1(VALU_DEP_3)
	v_cndmask_b32_e32 v2, v5, v6, vcc_lo
	v_cmp_le_u32_e32 vcc_lo, s62, v4
	v_mul_lo_u32 v6, v11, s48
	v_dual_cndmask_b32 v4, v4, v8, vcc_lo :: v_dual_bitop2_b32 v2, v2, v7 bitop3:0x14
	s_and_not1_b32 vcc_lo, exec_lo, s1
	s_delay_alu instid0(VALU_DEP_1) | instskip(NEXT) | instid1(VALU_DEP_2)
	v_xor_b32_e32 v8, v4, v9
	v_dual_sub_nc_u32 v4, v0, v6 :: v_dual_sub_nc_u32 v5, v2, v7
	s_delay_alu instid0(VALU_DEP_2)
	v_sub_nc_u32_e32 v6, v8, v9
	s_cbranch_vccnz .LBB54_17
; %bb.4:                                ;   in Loop: Header=BB54_3 Depth=1
	s_delay_alu instid0(VALU_DEP_2) | instskip(NEXT) | instid1(VALU_DEP_2)
	v_mul_lo_u32 v2, v5, s13
	v_mul_lo_u32 v8, v6, s14
	;; [unrolled: 1-line block ×3, first 2 shown]
	v_mov_b32_e32 v13, 0
	s_mov_b32 s2, 0
	s_mov_b64 s[50:51], s[22:23]
	s_delay_alu instid0(VALU_DEP_4) | instskip(NEXT) | instid1(VALU_DEP_4)
	v_subrev_nc_u32_e32 v7, s19, v2
	v_subrev_nc_u32_e32 v14, s28, v8
	s_delay_alu instid0(VALU_DEP_4)
	v_subrev_nc_u32_e32 v15, s29, v9
	s_branch .LBB54_6
.LBB54_5:                               ;   in Loop: Header=BB54_6 Depth=2
	s_add_co_i32 s2, s2, 1
	s_add_nc_u64 s[50:51], s[50:51], s[26:27]
	s_cmp_eq_u32 s2, s40
	s_cbranch_scc1 .LBB54_17
.LBB54_6:                               ;   Parent Loop BB54_3 Depth=1
                                        ; =>  This Loop Header: Depth=2
                                        ;       Child Loop BB54_9 Depth 3
                                        ;         Child Loop BB54_12 Depth 4
                                        ;           Child Loop BB54_15 Depth 5
	s_and_not1_b32 vcc_lo, exec_lo, s47
	s_cbranch_vccnz .LBB54_5
; %bb.7:                                ;   in Loop: Header=BB54_6 Depth=2
	s_mul_u64 s[52:53], s[2:3], s[36:37]
	s_mov_b32 s43, 0
	s_mov_b64 s[54:55], s[50:51]
	s_branch .LBB54_9
.LBB54_8:                               ;   in Loop: Header=BB54_9 Depth=3
	s_add_co_i32 s43, s43, 1
	s_add_nc_u64 s[54:55], s[54:55], s[24:25]
	s_cmp_eq_u32 s43, s42
	s_cbranch_scc1 .LBB54_5
.LBB54_9:                               ;   Parent Loop BB54_3 Depth=1
                                        ;     Parent Loop BB54_6 Depth=2
                                        ; =>    This Loop Header: Depth=3
                                        ;         Child Loop BB54_12 Depth 4
                                        ;           Child Loop BB54_15 Depth 5
	s_and_not1_b32 vcc_lo, exec_lo, s60
	s_cbranch_vccnz .LBB54_8
; %bb.10:                               ;   in Loop: Header=BB54_9 Depth=3
	v_mad_u32 v2, s43, s16, v7
	s_mov_b32 s45, 0
	s_mov_b64 s[56:57], s[54:55]
	s_delay_alu instid0(VALU_DEP_1)
	v_add_nc_u64_e32 v[8:9], s[52:53], v[2:3]
	v_cmp_gt_i32_e32 vcc_lo, 0, v2
	v_cmp_le_i32_e64 s0, s36, v2
	s_or_b32 s67, vcc_lo, s0
	v_mul_u64_e32 v[8:9], s[38:39], v[8:9]
	s_branch .LBB54_12
.LBB54_11:                              ;   in Loop: Header=BB54_12 Depth=4
	s_add_co_i32 s45, s45, 1
	s_add_nc_u64 s[56:57], s[56:57], s[34:35]
	s_cmp_eq_u32 s45, s44
	s_cbranch_scc1 .LBB54_8
.LBB54_12:                              ;   Parent Loop BB54_3 Depth=1
                                        ;     Parent Loop BB54_6 Depth=2
                                        ;       Parent Loop BB54_9 Depth=3
                                        ; =>      This Loop Header: Depth=4
                                        ;           Child Loop BB54_15 Depth 5
	s_and_not1_b32 vcc_lo, exec_lo, s61
	s_cbranch_vccnz .LBB54_11
; %bb.13:                               ;   in Loop: Header=BB54_12 Depth=4
	v_mad_u32 v2, s45, s17, v14
	s_mov_b64 s[58:59], s[56:57]
	s_mov_b32 s69, s34
	s_delay_alu instid0(VALU_DEP_1)
	v_add_nc_u64_e32 v[16:17], v[8:9], v[2:3]
	v_cmp_gt_i32_e32 vcc_lo, 0, v2
	v_cmp_le_i32_e64 s0, s38, v2
	v_mov_b32_e32 v2, v15
	s_or_b32 s0, vcc_lo, s0
	v_mad_nc_u64_u32 v[10:11], v16, s6, s[4:5]
	s_or_b32 s68, s67, s0
	s_delay_alu instid0(VALU_DEP_1) | instskip(NEXT) | instid1(VALU_DEP_1)
	v_mad_u32 v11, v17, s6, v11
	v_mad_u32 v11, v16, s7, v11
	s_branch .LBB54_15
.LBB54_14:                              ;   in Loop: Header=BB54_15 Depth=5
	s_wait_xcnt 0x0
	s_or_b32 exec_lo, exec_lo, s0
	v_add_nc_u32_e32 v2, s18, v2
	s_add_co_i32 s69, s69, -1
	s_add_nc_u64 s[58:59], s[58:59], 1
	s_cmp_eq_u32 s69, 0
	s_cbranch_scc1 .LBB54_11
.LBB54_15:                              ;   Parent Loop BB54_3 Depth=1
                                        ;     Parent Loop BB54_6 Depth=2
                                        ;       Parent Loop BB54_9 Depth=3
                                        ;         Parent Loop BB54_12 Depth=4
                                        ; =>        This Inner Loop Header: Depth=5
	v_cmp_gt_i32_e32 vcc_lo, 0, v2
	v_cmp_le_i32_e64 s0, s6, v2
	s_or_b32 s0, vcc_lo, s0
	s_delay_alu instid0(SALU_CYCLE_1) | instskip(NEXT) | instid1(SALU_CYCLE_1)
	s_nor_b32 s70, s68, s0
	s_and_saveexec_b32 s0, s70
	s_cbranch_execz .LBB54_14
; %bb.16:                               ;   in Loop: Header=BB54_15 Depth=5
	v_add_nc_u64_e32 v[16:17], v[10:11], v[2:3]
	s_load_i8 s70, s[58:59], 0x0
	global_load_i8 v16, v[16:17], off
	s_wait_loadcnt 0x0
	s_wait_kmcnt 0x0
	v_mad_i32_i24 v13, s70, v16, v13
	s_branch .LBB54_14
.LBB54_17:                              ;   in Loop: Header=BB54_3 Depth=1
	s_delay_alu instid0(VALU_DEP_1) | instskip(SKIP_2) | instid1(VALU_DEP_1)
	v_ashrrev_i32_e32 v7, 31, v6
	s_and_b32 vcc_lo, exec_lo, s63
	s_mov_b32 s0, -1
	v_mad_nc_i64_i32 v[6:7], v5, s46, v[6:7]
	v_ashrrev_i32_e32 v5, 31, v4
	s_delay_alu instid0(VALU_DEP_1) | instskip(NEXT) | instid1(VALU_DEP_1)
	v_mad_nc_u64_u32 v[4:5], v6, s48, v[4:5]
	v_mad_u32 v2, v7, s48, v5
	s_delay_alu instid0(VALU_DEP_1) | instskip(NEXT) | instid1(VALU_DEP_1)
	v_mad_u32 v5, v6, s49, v2
	v_lshl_add_u64 v[4:5], v[4:5], 2, s[8:9]
	s_cbranch_vccz .LBB54_19
; %bb.18:                               ;   in Loop: Header=BB54_3 Depth=1
	global_load_b32 v2, v[4:5], off
	v_mul_lo_u32 v6, v13, v1
	s_mov_b32 s0, 0
	s_wait_loadcnt 0x0
	s_delay_alu instid0(VALU_DEP_1)
	v_mad_u32 v2, v2, v12, v6
	global_store_b32 v[4:5], v2, off
.LBB54_19:                              ;   in Loop: Header=BB54_3 Depth=1
	s_and_not1_b32 vcc_lo, exec_lo, s0
	s_cbranch_vccnz .LBB54_2
; %bb.20:                               ;   in Loop: Header=BB54_3 Depth=1
	global_store_b32 v[4:5], v13, off
	s_branch .LBB54_2
.LBB54_21:
	s_endpgm
	.section	.rodata,"a",@progbits
	.p2align	6, 0x0
	.amdhsa_kernel naive_conv_ab_packed_fwd_ncdhw_int8_t_int32_t_int32_t
		.amdhsa_group_segment_fixed_size 0
		.amdhsa_private_segment_fixed_size 0
		.amdhsa_kernarg_size 528
		.amdhsa_user_sgpr_count 2
		.amdhsa_user_sgpr_dispatch_ptr 0
		.amdhsa_user_sgpr_queue_ptr 0
		.amdhsa_user_sgpr_kernarg_segment_ptr 1
		.amdhsa_user_sgpr_dispatch_id 0
		.amdhsa_user_sgpr_kernarg_preload_length 0
		.amdhsa_user_sgpr_kernarg_preload_offset 0
		.amdhsa_user_sgpr_private_segment_size 0
		.amdhsa_wavefront_size32 1
		.amdhsa_uses_dynamic_stack 0
		.amdhsa_enable_private_segment 0
		.amdhsa_system_sgpr_workgroup_id_x 1
		.amdhsa_system_sgpr_workgroup_id_y 0
		.amdhsa_system_sgpr_workgroup_id_z 0
		.amdhsa_system_sgpr_workgroup_info 0
		.amdhsa_system_vgpr_workitem_id 0
		.amdhsa_next_free_vgpr 18
		.amdhsa_next_free_sgpr 71
		.amdhsa_named_barrier_count 0
		.amdhsa_reserve_vcc 1
		.amdhsa_float_round_mode_32 0
		.amdhsa_float_round_mode_16_64 0
		.amdhsa_float_denorm_mode_32 3
		.amdhsa_float_denorm_mode_16_64 3
		.amdhsa_fp16_overflow 0
		.amdhsa_memory_ordered 1
		.amdhsa_forward_progress 1
		.amdhsa_inst_pref_size 14
		.amdhsa_round_robin_scheduling 0
		.amdhsa_exception_fp_ieee_invalid_op 0
		.amdhsa_exception_fp_denorm_src 0
		.amdhsa_exception_fp_ieee_div_zero 0
		.amdhsa_exception_fp_ieee_overflow 0
		.amdhsa_exception_fp_ieee_underflow 0
		.amdhsa_exception_fp_ieee_inexact 0
		.amdhsa_exception_int_div_zero 0
	.end_amdhsa_kernel
	.text
.Lfunc_end54:
	.size	naive_conv_ab_packed_fwd_ncdhw_int8_t_int32_t_int32_t, .Lfunc_end54-naive_conv_ab_packed_fwd_ncdhw_int8_t_int32_t_int32_t
                                        ; -- End function
	.set naive_conv_ab_packed_fwd_ncdhw_int8_t_int32_t_int32_t.num_vgpr, 18
	.set naive_conv_ab_packed_fwd_ncdhw_int8_t_int32_t_int32_t.num_agpr, 0
	.set naive_conv_ab_packed_fwd_ncdhw_int8_t_int32_t_int32_t.numbered_sgpr, 71
	.set naive_conv_ab_packed_fwd_ncdhw_int8_t_int32_t_int32_t.num_named_barrier, 0
	.set naive_conv_ab_packed_fwd_ncdhw_int8_t_int32_t_int32_t.private_seg_size, 0
	.set naive_conv_ab_packed_fwd_ncdhw_int8_t_int32_t_int32_t.uses_vcc, 1
	.set naive_conv_ab_packed_fwd_ncdhw_int8_t_int32_t_int32_t.uses_flat_scratch, 0
	.set naive_conv_ab_packed_fwd_ncdhw_int8_t_int32_t_int32_t.has_dyn_sized_stack, 0
	.set naive_conv_ab_packed_fwd_ncdhw_int8_t_int32_t_int32_t.has_recursion, 0
	.set naive_conv_ab_packed_fwd_ncdhw_int8_t_int32_t_int32_t.has_indirect_call, 0
	.section	.AMDGPU.csdata,"",@progbits
; Kernel info:
; codeLenInByte = 1792
; TotalNumSgprs: 73
; NumVgprs: 18
; ScratchSize: 0
; MemoryBound: 0
; FloatMode: 240
; IeeeMode: 1
; LDSByteSize: 0 bytes/workgroup (compile time only)
; SGPRBlocks: 0
; VGPRBlocks: 1
; NumSGPRsForWavesPerEU: 73
; NumVGPRsForWavesPerEU: 18
; NamedBarCnt: 0
; Occupancy: 16
; WaveLimiterHint : 1
; COMPUTE_PGM_RSRC2:SCRATCH_EN: 0
; COMPUTE_PGM_RSRC2:USER_SGPR: 2
; COMPUTE_PGM_RSRC2:TRAP_HANDLER: 0
; COMPUTE_PGM_RSRC2:TGID_X_EN: 1
; COMPUTE_PGM_RSRC2:TGID_Y_EN: 0
; COMPUTE_PGM_RSRC2:TGID_Z_EN: 0
; COMPUTE_PGM_RSRC2:TIDIG_COMP_CNT: 0
	.text
	.protected	naive_conv_ab_nonpacked_fwd_ncdhw_int8_t_int32_t_int32_t ; -- Begin function naive_conv_ab_nonpacked_fwd_ncdhw_int8_t_int32_t_int32_t
	.globl	naive_conv_ab_nonpacked_fwd_ncdhw_int8_t_int32_t_int32_t
	.p2align	8
	.type	naive_conv_ab_nonpacked_fwd_ncdhw_int8_t_int32_t_int32_t,@function
naive_conv_ab_nonpacked_fwd_ncdhw_int8_t_int32_t_int32_t: ; @naive_conv_ab_nonpacked_fwd_ncdhw_int8_t_int32_t_int32_t
; %bb.0:
	s_load_b512 s[4:19], s[0:1], 0xb8
	s_bfe_u32 s2, ttmp6, 0x4000c
	s_and_b32 s3, ttmp6, 15
	s_add_co_i32 s2, s2, 1
	s_getreg_b32 s20, hwreg(HW_REG_IB_STS2, 6, 4)
	s_mul_i32 s2, ttmp9, s2
	s_mov_b32 s25, exec_lo
	s_add_co_i32 s3, s3, s2
	s_cmp_eq_u32 s20, 0
	s_cselect_b32 s20, ttmp9, s3
	s_wait_kmcnt 0x0
	s_abs_i32 s3, s8
	s_mul_i32 s34, s12, s11
	s_cvt_f32_u32 s2, s3
	s_delay_alu instid0(SALU_CYCLE_3) | instskip(SKIP_1) | instid1(TRANS32_DEP_1)
	v_rcp_iflag_f32_e32 v1, s2
	v_nop
	v_readfirstlane_b32 s2, v1
	s_mul_f32 s2, s2, 0x4f7ffffe
	s_delay_alu instid0(SALU_CYCLE_3) | instskip(SKIP_1) | instid1(SALU_CYCLE_2)
	s_cvt_u32_f32 s21, s2
	s_sub_co_i32 s2, 0, s3
	s_mul_i32 s2, s2, s21
	s_delay_alu instid0(SALU_CYCLE_1) | instskip(SKIP_2) | instid1(SALU_CYCLE_1)
	s_mul_hi_u32 s22, s21, s2
	s_abs_i32 s2, s20
	s_add_co_i32 s21, s21, s22
	s_mul_hi_u32 s21, s2, s21
	s_delay_alu instid0(SALU_CYCLE_1) | instskip(SKIP_2) | instid1(SALU_CYCLE_1)
	s_mul_i32 s22, s21, s3
	s_add_co_i32 s23, s21, 1
	s_sub_co_i32 s22, s2, s22
	s_sub_co_i32 s24, s22, s3
	s_cmp_ge_u32 s22, s3
	s_cselect_b32 s21, s23, s21
	s_cselect_b32 s22, s24, s22
	s_add_co_i32 s23, s21, 1
	s_cmp_ge_u32 s22, s3
	s_mul_i32 s22, s8, s7
	s_cselect_b32 s23, s23, s21
	s_abs_i32 s21, s7
	s_abs_i32 s33, s22
	s_cvt_f32_u32 s3, s21
	s_cvt_f32_u32 s7, s33
	s_delay_alu instid0(SALU_CYCLE_2) | instskip(NEXT) | instid1(SALU_CYCLE_2)
	v_rcp_iflag_f32_e32 v1, s3
	v_rcp_iflag_f32_e32 v2, s7
	s_mul_i32 s7, s34, s10
	s_mov_b32 s3, 0
	s_delay_alu instid0(TRANS32_DEP_2) | instskip(NEXT) | instid1(TRANS32_DEP_1)
	v_readfirstlane_b32 s24, v1
	v_readfirstlane_b32 s10, v2
	v_cmpx_gt_i32_e64 s7, v0
	s_cbranch_execz .LBB55_21
; %bb.1:
	s_mul_f32 s24, s24, 0x4f7ffffe
	s_ashr_i32 s35, s20, 31
	s_ashr_i32 s25, s8, 31
	s_mul_f32 s10, s10, 0x4f7ffffe
	s_cvt_u32_f32 s26, s24
	s_xor_b32 s25, s35, s25
	s_sub_co_i32 s24, 0, s21
	s_xor_b32 s23, s23, s25
	s_mul_i32 s24, s24, s26
	s_cvt_u32_f32 s10, s10
	s_sub_co_i32 s23, s23, s25
	s_mul_hi_u32 s25, s26, s24
	s_sub_co_i32 s28, 0, s33
	s_abs_i32 s24, s23
	s_add_co_i32 s26, s26, s25
	s_mov_b32 s25, s3
	s_mov_b32 s27, s3
	s_mul_i32 s28, s28, s10
	s_mul_u64 s[26:27], s[24:25], s[26:27]
	s_mul_hi_u32 s25, s10, s28
	s_ashr_i32 s26, s22, 31
	s_add_co_i32 s22, s10, s25
	s_mul_i32 s10, s27, s21
	s_ashr_i32 s54, s23, 31
	s_mul_i32 s23, s23, s8
	s_sub_co_i32 s8, s24, s10
	s_sub_co_i32 s72, s20, s23
	;; [unrolled: 1-line block ×3, first 2 shown]
	s_cmp_ge_u32 s8, s21
	s_mov_b32 s23, s3
	s_cselect_b32 s8, s10, s8
	s_mul_u64 s[52:53], s[2:3], s[22:23]
	s_sub_co_i32 s10, s8, s21
	s_cmp_ge_u32 s8, s21
	s_load_b512 s[36:51], s[0:1], 0x68
	s_cselect_b32 s8, s10, s8
	s_clause 0x1
	s_load_b128 s[28:31], s[0:1], 0xf8
	s_load_b128 s[68:71], s[0:1], 0xa8
	s_xor_b32 s8, s8, s54
	s_xor_b32 s10, s35, s26
	s_sub_co_i32 s74, s8, s54
	s_mul_i32 s8, s53, s33
	s_load_b256 s[20:27], s[0:1], 0x0
	s_sub_co_i32 s2, s2, s8
	s_add_co_i32 s8, s53, 1
	s_sub_co_i32 s35, s2, s33
	s_cmp_ge_u32 s2, s33
	s_load_b64 s[76:77], s[0:1], 0x20
	s_cselect_b32 s8, s8, s53
	s_cselect_b32 s2, s35, s2
	s_add_co_i32 s35, s8, 1
	s_cmp_ge_u32 s2, s33
	s_load_b512 s[52:67], s[0:1], 0x28
	s_cselect_b32 s2, s35, s8
	s_load_b32 s8, s[0:1], 0x108
	s_xor_b32 s2, s2, s10
	s_ashr_i32 s75, s74, 31
	s_sub_co_i32 s78, s2, s10
	s_ashr_i32 s73, s72, 31
	s_ashr_i32 s79, s78, 31
	s_wait_kmcnt 0x0
	s_mul_u64 s[70:71], s[70:71], s[74:75]
	s_mul_u64 s[68:69], s[68:69], s[78:79]
	;; [unrolled: 1-line block ×3, first 2 shown]
	s_lshl_b64 s[80:81], s[70:71], 2
	s_lshl_b64 s[82:83], s[68:69], 2
	;; [unrolled: 1-line block ×3, first 2 shown]
	v_cmp_neq_f64_e64 s2, s[24:25], 1.0
	v_cmp_neq_f64_e64 s35, s[26:27], 0
	s_cmp_gt_i32 s9, 0
	s_load_b32 s0, s[0:1], 0x11c
	s_cselect_b32 s33, -1, 0
	s_cmp_gt_i32 s30, 0
	s_mul_u64 s[62:63], s[62:63], s[74:75]
	s_cselect_b32 s68, -1, 0
	s_cmp_gt_i32 s31, 0
	s_mul_u64 s[60:61], s[60:61], s[78:79]
	s_cselect_b32 s69, -1, 0
	s_cmp_gt_i32 s8, 0
	s_add_nc_u64 s[20:21], s[20:21], s[62:63]
	s_wait_xcnt 0x0
	s_cselect_b32 s1, -1, 0
	s_abs_i32 s70, s12
	s_add_nc_u64 s[20:21], s[20:21], s[60:61]
	s_cvt_f32_u32 s10, s70
	s_add_nc_u64 s[60:61], s[76:77], s[80:81]
	s_abs_i32 s71, s11
	s_mul_u64 s[40:41], s[40:41], s[72:73]
	v_rcp_iflag_f32_e32 v1, s10
	s_add_nc_u64 s[10:11], s[60:61], s[82:83]
	s_cvt_f32_u32 s60, s71
	s_abs_i32 s72, s34
	v_cvt_i32_f64_e32 v10, s[26:27]
	s_add_nc_u64 s[10:11], s[10:11], s[50:51]
	v_rcp_iflag_f32_e32 v2, s60
	v_readfirstlane_b32 s61, v1
	v_cvt_i32_f64_e32 v1, s[24:25]
	s_cvt_f32_u32 s51, s72
	s_sub_co_i32 s25, 0, s70
	s_wait_kmcnt 0x0
	s_and_b32 s74, s0, 0xffff
	s_mul_f32 s50, s61, 0x4f7ffffe
	v_rcp_iflag_f32_e32 v3, s51
	v_readfirstlane_b32 s24, v2
	s_or_b32 s73, s2, s35
	s_cvt_u32_f32 s2, s50
	s_sub_co_i32 s27, 0, s72
	s_mul_u64 s[42:43], s[42:43], s[78:79]
	s_mul_f32 s0, s24, 0x4f7ffffe
	v_readfirstlane_b32 s26, v3
	s_mul_i32 s25, s25, s2
	v_mov_b32_e32 v3, 0
	s_mul_hi_u32 s24, s2, s25
	s_cvt_u32_f32 s0, s0
	s_add_co_i32 s24, s2, s24
	s_mul_f32 s2, s26, 0x4f7ffffe
	s_sub_co_i32 s26, 0, s71
	s_add_nc_u64 s[40:41], s[40:41], s[42:43]
	s_mul_i32 s26, s26, s0
	s_cvt_u32_f32 s2, s2
	s_mul_hi_u32 s26, s0, s26
	s_ashr_i32 s75, s12, 31
	s_add_co_i32 s26, s0, s26
	s_mul_i32 s0, s27, s2
	s_mov_b32 s25, s3
	s_mul_hi_u32 s0, s2, s0
	s_mov_b32 s27, s3
	s_ashr_i32 s76, s34, 31
	s_add_co_i32 s34, s2, s0
	s_mov_b32 s35, s3
	s_add_nc_u64 s[22:23], s[22:23], s[40:41]
	s_mov_b32 s77, 0
	s_branch .LBB55_3
.LBB55_2:                               ;   in Loop: Header=BB55_3 Depth=1
	v_add_nc_u32_e32 v0, s74, v0
	s_delay_alu instid0(VALU_DEP_1)
	v_cmp_le_i32_e32 vcc_lo, s7, v0
	s_or_b32 s77, vcc_lo, s77
	s_wait_xcnt 0x0
	s_and_not1_b32 exec_lo, exec_lo, s77
	s_cbranch_execz .LBB55_21
.LBB55_3:                               ; =>This Loop Header: Depth=1
                                        ;     Child Loop BB55_6 Depth 2
                                        ;       Child Loop BB55_9 Depth 3
                                        ;         Child Loop BB55_12 Depth 4
                                        ;           Child Loop BB55_15 Depth 5
	v_dual_sub_nc_u32 v2, 0, v0 :: v_dual_ashrrev_i32 v11, 31, v0
	s_delay_alu instid0(VALU_DEP_1) | instskip(NEXT) | instid1(VALU_DEP_1)
	v_max_i32_e32 v2, v0, v2
	v_mul_u64_e32 v[4:5], s[24:25], v[2:3]
	s_delay_alu instid0(VALU_DEP_1) | instskip(NEXT) | instid1(VALU_DEP_1)
	v_mul_lo_u32 v4, v5, s70
	v_dual_add_nc_u32 v6, 1, v5 :: v_dual_sub_nc_u32 v4, v2, v4
	s_delay_alu instid0(VALU_DEP_1) | instskip(NEXT) | instid1(VALU_DEP_2)
	v_cmp_le_u32_e32 vcc_lo, s70, v4
	v_cndmask_b32_e32 v5, v5, v6, vcc_lo
	v_subrev_nc_u32_e32 v7, s70, v4
	s_delay_alu instid0(VALU_DEP_1) | instskip(NEXT) | instid1(VALU_DEP_1)
	v_dual_add_nc_u32 v6, 1, v5 :: v_dual_cndmask_b32 v4, v4, v7, vcc_lo
	v_cmp_le_u32_e32 vcc_lo, s70, v4
	s_delay_alu instid0(VALU_DEP_2) | instskip(NEXT) | instid1(VALU_DEP_1)
	v_dual_cndmask_b32 v4, v5, v6, vcc_lo :: v_dual_bitop2_b32 v7, s75, v11 bitop3:0x14
	v_dual_mov_b32 v5, v3 :: v_dual_bitop2_b32 v4, v4, v7 bitop3:0x14
	s_delay_alu instid0(VALU_DEP_1) | instskip(SKIP_1) | instid1(VALU_DEP_2)
	v_sub_nc_u32_e32 v12, v4, v7
	v_mul_u64_e32 v[6:7], s[34:35], v[2:3]
	v_sub_nc_u32_e32 v4, 0, v12
	s_delay_alu instid0(VALU_DEP_1) | instskip(NEXT) | instid1(VALU_DEP_1)
	v_max_i32_e32 v4, v12, v4
	v_mul_u64_e32 v[8:9], s[26:27], v[4:5]
	s_delay_alu instid0(VALU_DEP_4) | instskip(NEXT) | instid1(VALU_DEP_1)
	v_mul_lo_u32 v5, v7, s72
	v_dual_sub_nc_u32 v2, v2, v5 :: v_dual_add_nc_u32 v5, 1, v7
	s_delay_alu instid0(VALU_DEP_3) | instskip(NEXT) | instid1(VALU_DEP_2)
	v_mul_lo_u32 v6, v9, s71
	v_cmp_le_u32_e32 vcc_lo, s72, v2
	s_delay_alu instid0(VALU_DEP_2) | instskip(SKIP_1) | instid1(VALU_DEP_1)
	v_dual_cndmask_b32 v5, v7, v5 :: v_dual_sub_nc_u32 v4, v4, v6
	v_subrev_nc_u32_e32 v6, s72, v2
	v_cndmask_b32_e32 v2, v2, v6, vcc_lo
	s_delay_alu instid0(VALU_DEP_3) | instskip(SKIP_2) | instid1(VALU_DEP_4)
	v_subrev_nc_u32_e32 v8, s71, v4
	v_cmp_le_u32_e64 s0, s71, v4
	v_add_nc_u32_e32 v6, 1, v5
	v_cmp_le_u32_e32 vcc_lo, s72, v2
	s_delay_alu instid0(VALU_DEP_3) | instskip(NEXT) | instid1(VALU_DEP_3)
	v_dual_cndmask_b32 v4, v4, v8, s0 :: v_dual_bitop2_b32 v7, s76, v11 bitop3:0x14
	v_cndmask_b32_e32 v2, v5, v6, vcc_lo
	v_mul_lo_u32 v5, v12, s12
	s_delay_alu instid0(VALU_DEP_3) | instskip(SKIP_1) | instid1(VALU_DEP_4)
	v_subrev_nc_u32_e32 v8, s71, v4
	v_cmp_le_u32_e32 vcc_lo, s71, v4
	v_dual_ashrrev_i32 v6, 31, v12 :: v_dual_bitop2_b32 v2, v2, v7 bitop3:0x14
	s_delay_alu instid0(VALU_DEP_3) | instskip(SKIP_1) | instid1(VALU_DEP_2)
	v_cndmask_b32_e32 v4, v4, v8, vcc_lo
	s_and_not1_b32 vcc_lo, exec_lo, s33
	v_dual_mov_b32 v2, 0 :: v_dual_sub_nc_u32 v11, v2, v7
	s_delay_alu instid0(VALU_DEP_2) | instskip(SKIP_1) | instid1(VALU_DEP_2)
	v_xor_b32_e32 v8, v4, v6
	v_sub_nc_u32_e32 v4, v0, v5
	v_sub_nc_u32_e32 v12, v8, v6
	s_cbranch_vccnz .LBB55_17
; %bb.4:                                ;   in Loop: Header=BB55_3 Depth=1
	v_mul_lo_u32 v2, v11, s13
	s_delay_alu instid0(VALU_DEP_2) | instskip(SKIP_3) | instid1(VALU_DEP_3)
	v_mul_lo_u32 v6, v12, s14
	v_mul_lo_u32 v7, v4, s15
	s_mov_b32 s2, 0
	s_mov_b64 s[40:41], s[22:23]
	v_subrev_nc_u32_e32 v5, s19, v2
	s_delay_alu instid0(VALU_DEP_3) | instskip(NEXT) | instid1(VALU_DEP_3)
	v_subrev_nc_u32_e32 v13, s28, v6
	v_subrev_nc_u32_e32 v14, s29, v7
	v_mov_b32_e32 v2, 0
	s_branch .LBB55_6
.LBB55_5:                               ;   in Loop: Header=BB55_6 Depth=2
	s_add_co_i32 s2, s2, 1
	s_add_nc_u64 s[40:41], s[40:41], s[38:39]
	s_cmp_eq_u32 s2, s9
	s_cbranch_scc1 .LBB55_17
.LBB55_6:                               ;   Parent Loop BB55_3 Depth=1
                                        ; =>  This Loop Header: Depth=2
                                        ;       Child Loop BB55_9 Depth 3
                                        ;         Child Loop BB55_12 Depth 4
                                        ;           Child Loop BB55_15 Depth 5
	s_and_not1_b32 vcc_lo, exec_lo, s68
	s_cbranch_vccnz .LBB55_5
; %bb.7:                                ;   in Loop: Header=BB55_6 Depth=2
	s_mul_u64 s[42:43], s[58:59], s[2:3]
	s_mov_b32 s78, 0
	s_add_nc_u64 s[42:43], s[20:21], s[42:43]
	s_mov_b64 s[50:51], s[40:41]
	s_branch .LBB55_9
.LBB55_8:                               ;   in Loop: Header=BB55_9 Depth=3
	s_add_co_i32 s78, s78, 1
	s_add_nc_u64 s[50:51], s[50:51], s[36:37]
	s_cmp_eq_u32 s78, s30
	s_cbranch_scc1 .LBB55_5
.LBB55_9:                               ;   Parent Loop BB55_3 Depth=1
                                        ;     Parent Loop BB55_6 Depth=2
                                        ; =>    This Loop Header: Depth=3
                                        ;         Child Loop BB55_12 Depth 4
                                        ;           Child Loop BB55_15 Depth 5
	s_and_not1_b32 vcc_lo, exec_lo, s69
	s_cbranch_vccnz .LBB55_8
; %bb.10:                               ;   in Loop: Header=BB55_9 Depth=3
	v_mad_u32 v8, s78, s16, v5
	s_mov_b32 s79, 0
	s_mov_b64 s[60:61], s[50:51]
	s_delay_alu instid0(VALU_DEP_1)
	v_mad_nc_u64_u32 v[6:7], s56, v8, s[42:43]
	v_cmp_gt_i32_e32 vcc_lo, 0, v8
	v_cmp_le_i32_e64 s0, s4, v8
	s_or_b32 s80, vcc_lo, s0
	v_mad_u32 v7, s57, v8, v7
	s_branch .LBB55_12
.LBB55_11:                              ;   in Loop: Header=BB55_12 Depth=4
	s_add_co_i32 s79, s79, 1
	s_add_nc_u64 s[60:61], s[60:61], s[66:67]
	s_cmp_eq_u32 s79, s31
	s_cbranch_scc1 .LBB55_8
.LBB55_12:                              ;   Parent Loop BB55_3 Depth=1
                                        ;     Parent Loop BB55_6 Depth=2
                                        ;       Parent Loop BB55_9 Depth=3
                                        ; =>      This Loop Header: Depth=4
                                        ;           Child Loop BB55_15 Depth 5
	s_and_not1_b32 vcc_lo, exec_lo, s1
	s_cbranch_vccnz .LBB55_11
; %bb.13:                               ;   in Loop: Header=BB55_12 Depth=4
	v_mad_u32 v15, s79, s17, v13
	s_mov_b64 s[62:63], s[60:61]
	s_mov_b32 s82, s8
	s_delay_alu instid0(VALU_DEP_1) | instskip(SKIP_3) | instid1(SALU_CYCLE_1)
	v_mad_nc_u64_u32 v[8:9], s54, v15, v[6:7]
	v_cmp_gt_i32_e32 vcc_lo, 0, v15
	v_cmp_le_i32_e64 s0, s5, v15
	s_or_b32 s0, vcc_lo, s0
	s_or_b32 s81, s80, s0
	v_mad_u32 v9, s55, v15, v9
	v_mov_b32_e32 v15, v14
	s_branch .LBB55_15
.LBB55_14:                              ;   in Loop: Header=BB55_15 Depth=5
	s_wait_xcnt 0x0
	s_or_b32 exec_lo, exec_lo, s0
	v_add_nc_u32_e32 v15, s18, v15
	s_add_co_i32 s82, s82, -1
	s_add_nc_u64 s[62:63], s[62:63], s[64:65]
	s_cmp_eq_u32 s82, 0
	s_cbranch_scc1 .LBB55_11
.LBB55_15:                              ;   Parent Loop BB55_3 Depth=1
                                        ;     Parent Loop BB55_6 Depth=2
                                        ;       Parent Loop BB55_9 Depth=3
                                        ;         Parent Loop BB55_12 Depth=4
                                        ; =>        This Inner Loop Header: Depth=5
	s_delay_alu instid0(VALU_DEP_1) | instskip(SKIP_2) | instid1(SALU_CYCLE_1)
	v_cmp_gt_i32_e32 vcc_lo, 0, v15
	v_cmp_le_i32_e64 s0, s6, v15
	s_or_b32 s0, vcc_lo, s0
	s_nor_b32 s83, s81, s0
	s_delay_alu instid0(SALU_CYCLE_1)
	s_and_saveexec_b32 s0, s83
	s_cbranch_execz .LBB55_14
; %bb.16:                               ;   in Loop: Header=BB55_15 Depth=5
	v_mad_nc_u64_u32 v[16:17], s52, v15, v[8:9]
	s_load_i8 s83, s[62:63], 0x0
	s_delay_alu instid0(VALU_DEP_1)
	v_mad_u32 v17, s53, v15, v17
	global_load_i8 v16, v[16:17], off
	s_wait_loadcnt 0x0
	s_wait_kmcnt 0x0
	v_mad_i32_i24 v2, s83, v16, v2
	s_branch .LBB55_14
.LBB55_17:                              ;   in Loop: Header=BB55_3 Depth=1
	s_delay_alu instid0(VALU_DEP_2) | instskip(NEXT) | instid1(VALU_DEP_2)
	v_ashrrev_i32_e32 v5, 31, v4
	v_ashrrev_i32_e32 v6, 31, v12
	s_and_b32 vcc_lo, exec_lo, s73
	s_mov_b32 s0, -1
	s_delay_alu instid0(VALU_DEP_2) | instskip(NEXT) | instid1(VALU_DEP_1)
	v_mul_u64_e32 v[4:5], s[44:45], v[4:5]
	v_mad_nc_u64_u32 v[4:5], s46, v12, v[4:5]
	s_delay_alu instid0(VALU_DEP_1) | instskip(NEXT) | instid1(VALU_DEP_1)
	v_mad_u32 v5, s47, v12, v5
	v_mad_u32 v5, s46, v6, v5
	v_ashrrev_i32_e32 v6, 31, v11
	s_delay_alu instid0(VALU_DEP_2) | instskip(NEXT) | instid1(VALU_DEP_1)
	v_mad_nc_u64_u32 v[4:5], s48, v11, v[4:5]
	v_mad_u32 v5, s49, v11, v5
	s_delay_alu instid0(VALU_DEP_1) | instskip(NEXT) | instid1(VALU_DEP_1)
	v_mad_u32 v5, s48, v6, v5
	v_lshl_add_u64 v[4:5], v[4:5], 2, s[10:11]
	s_cbranch_vccz .LBB55_19
; %bb.18:                               ;   in Loop: Header=BB55_3 Depth=1
	global_load_b32 v6, v[4:5], off
	v_mul_lo_u32 v7, v2, v1
	s_mov_b32 s0, 0
	s_wait_loadcnt 0x0
	s_delay_alu instid0(VALU_DEP_1)
	v_mad_u32 v6, v6, v10, v7
	global_store_b32 v[4:5], v6, off
.LBB55_19:                              ;   in Loop: Header=BB55_3 Depth=1
	s_and_not1_b32 vcc_lo, exec_lo, s0
	s_cbranch_vccnz .LBB55_2
; %bb.20:                               ;   in Loop: Header=BB55_3 Depth=1
	global_store_b32 v[4:5], v2, off
	s_branch .LBB55_2
.LBB55_21:
	s_endpgm
	.section	.rodata,"a",@progbits
	.p2align	6, 0x0
	.amdhsa_kernel naive_conv_ab_nonpacked_fwd_ncdhw_int8_t_int32_t_int32_t
		.amdhsa_group_segment_fixed_size 0
		.amdhsa_private_segment_fixed_size 0
		.amdhsa_kernarg_size 528
		.amdhsa_user_sgpr_count 2
		.amdhsa_user_sgpr_dispatch_ptr 0
		.amdhsa_user_sgpr_queue_ptr 0
		.amdhsa_user_sgpr_kernarg_segment_ptr 1
		.amdhsa_user_sgpr_dispatch_id 0
		.amdhsa_user_sgpr_kernarg_preload_length 0
		.amdhsa_user_sgpr_kernarg_preload_offset 0
		.amdhsa_user_sgpr_private_segment_size 0
		.amdhsa_wavefront_size32 1
		.amdhsa_uses_dynamic_stack 0
		.amdhsa_enable_private_segment 0
		.amdhsa_system_sgpr_workgroup_id_x 1
		.amdhsa_system_sgpr_workgroup_id_y 0
		.amdhsa_system_sgpr_workgroup_id_z 0
		.amdhsa_system_sgpr_workgroup_info 0
		.amdhsa_system_vgpr_workitem_id 0
		.amdhsa_next_free_vgpr 18
		.amdhsa_next_free_sgpr 84
		.amdhsa_named_barrier_count 0
		.amdhsa_reserve_vcc 1
		.amdhsa_float_round_mode_32 0
		.amdhsa_float_round_mode_16_64 0
		.amdhsa_float_denorm_mode_32 3
		.amdhsa_float_denorm_mode_16_64 3
		.amdhsa_fp16_overflow 0
		.amdhsa_memory_ordered 1
		.amdhsa_forward_progress 1
		.amdhsa_inst_pref_size 14
		.amdhsa_round_robin_scheduling 0
		.amdhsa_exception_fp_ieee_invalid_op 0
		.amdhsa_exception_fp_denorm_src 0
		.amdhsa_exception_fp_ieee_div_zero 0
		.amdhsa_exception_fp_ieee_overflow 0
		.amdhsa_exception_fp_ieee_underflow 0
		.amdhsa_exception_fp_ieee_inexact 0
		.amdhsa_exception_int_div_zero 0
	.end_amdhsa_kernel
	.text
.Lfunc_end55:
	.size	naive_conv_ab_nonpacked_fwd_ncdhw_int8_t_int32_t_int32_t, .Lfunc_end55-naive_conv_ab_nonpacked_fwd_ncdhw_int8_t_int32_t_int32_t
                                        ; -- End function
	.set naive_conv_ab_nonpacked_fwd_ncdhw_int8_t_int32_t_int32_t.num_vgpr, 18
	.set naive_conv_ab_nonpacked_fwd_ncdhw_int8_t_int32_t_int32_t.num_agpr, 0
	.set naive_conv_ab_nonpacked_fwd_ncdhw_int8_t_int32_t_int32_t.numbered_sgpr, 84
	.set naive_conv_ab_nonpacked_fwd_ncdhw_int8_t_int32_t_int32_t.num_named_barrier, 0
	.set naive_conv_ab_nonpacked_fwd_ncdhw_int8_t_int32_t_int32_t.private_seg_size, 0
	.set naive_conv_ab_nonpacked_fwd_ncdhw_int8_t_int32_t_int32_t.uses_vcc, 1
	.set naive_conv_ab_nonpacked_fwd_ncdhw_int8_t_int32_t_int32_t.uses_flat_scratch, 0
	.set naive_conv_ab_nonpacked_fwd_ncdhw_int8_t_int32_t_int32_t.has_dyn_sized_stack, 0
	.set naive_conv_ab_nonpacked_fwd_ncdhw_int8_t_int32_t_int32_t.has_recursion, 0
	.set naive_conv_ab_nonpacked_fwd_ncdhw_int8_t_int32_t_int32_t.has_indirect_call, 0
	.section	.AMDGPU.csdata,"",@progbits
; Kernel info:
; codeLenInByte = 1756
; TotalNumSgprs: 86
; NumVgprs: 18
; ScratchSize: 0
; MemoryBound: 0
; FloatMode: 240
; IeeeMode: 1
; LDSByteSize: 0 bytes/workgroup (compile time only)
; SGPRBlocks: 0
; VGPRBlocks: 1
; NumSGPRsForWavesPerEU: 86
; NumVGPRsForWavesPerEU: 18
; NamedBarCnt: 0
; Occupancy: 16
; WaveLimiterHint : 1
; COMPUTE_PGM_RSRC2:SCRATCH_EN: 0
; COMPUTE_PGM_RSRC2:USER_SGPR: 2
; COMPUTE_PGM_RSRC2:TRAP_HANDLER: 0
; COMPUTE_PGM_RSRC2:TGID_X_EN: 1
; COMPUTE_PGM_RSRC2:TGID_Y_EN: 0
; COMPUTE_PGM_RSRC2:TGID_Z_EN: 0
; COMPUTE_PGM_RSRC2:TIDIG_COMP_CNT: 0
	.text
	.protected	naive_conv_ab_packed_fwd_ncdhw_int8_t_int32_t_float ; -- Begin function naive_conv_ab_packed_fwd_ncdhw_int8_t_int32_t_float
	.globl	naive_conv_ab_packed_fwd_ncdhw_int8_t_int32_t_float
	.p2align	8
	.type	naive_conv_ab_packed_fwd_ncdhw_int8_t_int32_t_float,@function
naive_conv_ab_packed_fwd_ncdhw_int8_t_int32_t_float: ; @naive_conv_ab_packed_fwd_ncdhw_int8_t_int32_t_float
; %bb.0:
	s_load_b512 s[4:19], s[0:1], 0xb8
	s_bfe_u32 s2, ttmp6, 0x4000c
	s_and_b32 s3, ttmp6, 15
	s_add_co_i32 s2, s2, 1
	s_getreg_b32 s20, hwreg(HW_REG_IB_STS2, 6, 4)
	s_mul_i32 s2, ttmp9, s2
	s_delay_alu instid0(SALU_CYCLE_1)
	s_add_co_i32 s3, s3, s2
	s_cmp_eq_u32 s20, 0
	s_cselect_b32 s20, ttmp9, s3
	s_wait_kmcnt 0x0
	s_abs_i32 s3, s8
	s_mul_i32 s54, s12, s11
	s_cvt_f32_u32 s2, s3
	s_mul_i32 s33, s54, s10
	s_delay_alu instid0(SALU_CYCLE_2) | instskip(SKIP_1) | instid1(TRANS32_DEP_1)
	v_rcp_iflag_f32_e32 v1, s2
	v_nop
	v_readfirstlane_b32 s2, v1
	s_mul_f32 s2, s2, 0x4f7ffffe
	s_delay_alu instid0(SALU_CYCLE_3) | instskip(SKIP_1) | instid1(SALU_CYCLE_2)
	s_cvt_u32_f32 s21, s2
	s_sub_co_i32 s2, 0, s3
	s_mul_i32 s2, s2, s21
	s_delay_alu instid0(SALU_CYCLE_1) | instskip(SKIP_2) | instid1(SALU_CYCLE_1)
	s_mul_hi_u32 s22, s21, s2
	s_abs_i32 s2, s20
	s_add_co_i32 s21, s21, s22
	s_mul_hi_u32 s21, s2, s21
	s_delay_alu instid0(SALU_CYCLE_1) | instskip(SKIP_2) | instid1(SALU_CYCLE_1)
	s_mul_i32 s22, s21, s3
	s_add_co_i32 s23, s21, 1
	s_sub_co_i32 s22, s2, s22
	s_sub_co_i32 s24, s22, s3
	s_cmp_ge_u32 s22, s3
	s_cselect_b32 s21, s23, s21
	s_cselect_b32 s22, s24, s22
	s_add_co_i32 s23, s21, 1
	s_cmp_ge_u32 s22, s3
	s_mul_i32 s22, s8, s7
	s_cselect_b32 s25, s23, s21
	s_abs_i32 s23, s7
	s_abs_i32 s7, s22
	s_cvt_f32_u32 s3, s23
	s_cvt_f32_u32 s21, s7
	s_delay_alu instid0(SALU_CYCLE_2) | instskip(NEXT) | instid1(SALU_CYCLE_2)
	v_rcp_iflag_f32_e32 v1, s3
	v_rcp_iflag_f32_e32 v2, s21
	s_mov_b32 s3, 0
	s_mov_b32 s21, exec_lo
	s_delay_alu instid0(TRANS32_DEP_2) | instskip(NEXT) | instid1(TRANS32_DEP_1)
	v_readfirstlane_b32 s26, v1
	v_readfirstlane_b32 s24, v2
	v_cmpx_gt_i32_e64 s33, v0
	s_cbranch_execz .LBB56_19
; %bb.1:
	s_ashr_i32 s28, s20, 31
	s_ashr_i32 s21, s8, 31
	s_mul_f32 s26, s26, 0x4f7ffffe
	s_xor_b32 s27, s28, s21
	s_sub_co_i32 s34, 0, s7
	s_xor_b32 s25, s25, s27
	s_cvt_u32_f32 s26, s26
	s_sub_co_i32 s29, s25, s27
	s_sub_co_i32 s25, 0, s23
	s_mul_f32 s27, s24, 0x4f7ffffe
	s_mul_i32 s25, s25, s26
	s_abs_i32 s24, s29
	s_mul_hi_u32 s25, s26, s25
	s_cvt_u32_f32 s31, s27
	s_add_co_i32 s26, s26, s25
	s_mov_b32 s25, s3
	s_mov_b32 s27, s3
	s_mul_i32 s34, s34, s31
	s_mul_u64 s[26:27], s[24:25], s[26:27]
	s_ashr_i32 s36, s22, 31
	s_mul_i32 s22, s27, s23
	s_ashr_i32 s30, s29, 31
	s_mul_hi_u32 s25, s31, s34
	s_mul_i32 s29, s29, s8
	s_sub_co_i32 s24, s24, s22
	s_add_co_i32 s26, s31, s25
	s_sub_co_i32 s22, s20, s29
	s_sub_co_i32 s20, s24, s23
	s_cmp_ge_u32 s24, s23
	s_mov_b32 s27, s3
	s_cselect_b32 s20, s20, s24
	s_clause 0x1
	s_load_b64 s[34:35], s[0:1], 0x108
	s_load_b32 s55, s[0:1], 0x11c
	s_sub_co_i32 s24, s20, s23
	s_cmp_ge_u32 s20, s23
	s_mov_b32 s44, s11
	s_cselect_b32 s20, s24, s20
	s_mul_u64 s[24:25], s[2:3], s[26:27]
	s_xor_b32 s20, s20, s30
	s_xor_b32 s23, s28, s36
	s_sub_co_i32 s52, s20, s30
	s_mul_i32 s20, s25, s7
	s_clause 0x1
	s_load_b128 s[28:31], s[0:1], 0xf8
	s_load_b64 s[50:51], s[0:1], 0x20
	s_sub_co_i32 s2, s2, s20
	s_add_co_i32 s20, s25, 1
	s_sub_co_i32 s24, s2, s7
	s_cmp_ge_u32 s2, s7
	s_mov_b32 s46, s12
	s_cselect_b32 s20, s20, s25
	s_cselect_b32 s2, s24, s2
	s_add_co_i32 s24, s20, 1
	s_cmp_ge_u32 s2, s7
	s_wait_kmcnt 0x0
	s_mul_i32 s56, s35, s9
	s_cselect_b32 s2, s24, s20
	s_mov_b32 s20, s8
	s_xor_b32 s2, s2, s23
	s_mul_i32 s24, s35, s8
	s_sub_co_i32 s58, s2, s23
	s_ashr_i32 s23, s22, 31
	s_ashr_i32 s59, s58, 31
	;; [unrolled: 1-line block ×3, first 2 shown]
	s_mul_u64 s[20:21], s[58:59], s[20:21]
	s_ashr_i32 s25, s24, 31
	s_add_nc_u64 s[66:67], s[20:21], s[22:23]
	s_ashr_i32 s23, s10, 31
	s_mov_b32 s22, s10
	s_ashr_i32 s45, s11, 31
	s_mul_u64 s[20:21], s[52:53], s[24:25]
	s_ashr_i32 s47, s12, 31
	s_mul_u64 s[22:23], s[44:45], s[22:23]
	s_add_nc_u64 s[20:21], s[66:67], s[20:21]
	s_mul_u64 s[22:23], s[22:23], s[46:47]
	s_ashr_i32 s57, s56, 31
	s_mul_u64 s[20:21], s[22:23], s[20:21]
	s_ashr_i32 s37, s4, 31
	s_ashr_i32 s39, s5, 31
	;; [unrolled: 1-line block ×7, first 2 shown]
	s_lshl_b64 s[64:65], s[20:21], 2
	s_cmp_gt_i32 s9, 0
	s_load_b256 s[20:27], s[0:1], 0x0
	s_wait_xcnt 0x0
	s_cselect_b32 s1, -1, 0
	s_cmp_gt_i32 s30, 0
	s_mov_b32 s48, s31
	s_cselect_b32 s45, -1, 0
	s_cmp_gt_i32 s31, 0
	s_mov_b32 s40, s9
	s_cselect_b32 s60, -1, 0
	s_cmp_gt_i32 s34, 0
	s_mul_u64 s[52:53], s[52:53], s[56:57]
	s_cselect_b32 s61, -1, 0
	s_abs_i32 s12, s12
	s_abs_i32 s62, s11
	s_cvt_f32_u32 s0, s12
	s_abs_i32 s63, s54
	s_mov_b32 s36, s4
	s_cvt_f32_u32 s11, s63
	v_rcp_iflag_f32_e32 v1, s0
	s_cvt_f32_u32 s0, s62
	s_mul_u64 s[8:9], s[58:59], s[40:41]
	s_wait_kmcnt 0x0
	v_cmp_neq_f64_e64 s31, s[26:27], 0
	v_cvt_i32_f64_e32 v12, s[26:27]
	s_mov_b32 s38, s5
	s_add_nc_u64 s[4:5], s[8:9], s[52:53]
	v_readfirstlane_b32 s2, v1
	v_rcp_iflag_f32_e32 v1, s0
	v_cmp_neq_f64_e64 s0, s[24:25], 1.0
	s_mul_u64 s[8:9], s[38:39], s[36:37]
	v_rcp_iflag_f32_e32 v2, s11
	s_mul_f32 s2, s2, 0x4f7ffffe
	s_mul_u64 s[8:9], s[8:9], s[6:7]
	s_sub_co_i32 s11, 0, s12
	v_readfirstlane_b32 s10, v1
	v_cvt_i32_f64_e32 v1, s[24:25]
	s_mul_u64 s[4:5], s[8:9], s[4:5]
	s_cvt_u32_f32 s2, s2
	s_add_nc_u64 s[4:5], s[20:21], s[4:5]
	s_mul_f32 s10, s10, 0x4f7ffffe
	v_readfirstlane_b32 s21, v2
	s_mul_i32 s11, s11, s2
	s_mov_b32 s42, s30
	s_cvt_u32_f32 s20, s10
	s_sub_co_i32 s10, 0, s62
	s_mul_hi_u32 s11, s2, s11
	s_sub_co_i32 s26, 0, s63
	s_mul_i32 s24, s10, s20
	s_add_co_i32 s10, s2, s11
	s_mul_hi_u32 s2, s20, s24
	s_mul_f32 s24, s21, 0x4f7ffffe
	s_add_co_i32 s20, s20, s2
	s_add_nc_u64 s[8:9], s[50:51], s[64:65]
	v_mov_b32_e32 v3, 0
	s_cvt_u32_f32 s2, s24
	s_mul_u64 s[24:25], s[34:35], s[48:49]
	s_and_b32 s64, s55, 0xffff
	s_mov_b32 s11, s3
	s_mul_i32 s30, s26, s2
	s_mul_u64 s[26:27], s[24:25], s[42:43]
	s_mul_hi_u32 s30, s2, s30
	s_mul_u64 s[50:51], s[26:27], s[66:67]
	s_mov_b32 s21, s3
	s_mul_u64 s[50:51], s[50:51], s[40:41]
	s_ashr_i32 s65, s54, 31
	s_add_co_i32 s30, s2, s30
	s_or_b32 s41, s0, s31
	s_mov_b32 s31, s3
	s_add_nc_u64 s[22:23], s[22:23], s[50:51]
	s_mov_b32 s43, 0
	s_branch .LBB56_3
.LBB56_2:                               ;   in Loop: Header=BB56_3 Depth=1
	v_add_nc_u32_e32 v0, s64, v0
	s_delay_alu instid0(VALU_DEP_2) | instskip(NEXT) | instid1(VALU_DEP_2)
	v_cvt_f32_i32_e32 v2, v13
	v_cmp_le_i32_e32 vcc_lo, s33, v0
	global_store_b32 v[4:5], v2, off
	s_or_b32 s43, vcc_lo, s43
	s_wait_xcnt 0x0
	s_and_not1_b32 exec_lo, exec_lo, s43
	s_cbranch_execz .LBB56_19
.LBB56_3:                               ; =>This Loop Header: Depth=1
                                        ;     Child Loop BB56_6 Depth 2
                                        ;       Child Loop BB56_9 Depth 3
                                        ;         Child Loop BB56_12 Depth 4
                                        ;           Child Loop BB56_15 Depth 5
	v_dual_sub_nc_u32 v2, 0, v0 :: v_dual_ashrrev_i32 v10, 31, v0
	s_delay_alu instid0(VALU_DEP_1) | instskip(NEXT) | instid1(VALU_DEP_1)
	v_dual_mov_b32 v13, v3 :: v_dual_max_i32 v2, v0, v2
	v_mul_u64_e32 v[4:5], s[10:11], v[2:3]
	s_delay_alu instid0(VALU_DEP_1) | instskip(NEXT) | instid1(VALU_DEP_1)
	v_mul_lo_u32 v4, v5, s12
	v_dual_add_nc_u32 v6, 1, v5 :: v_dual_sub_nc_u32 v4, v2, v4
	s_delay_alu instid0(VALU_DEP_1) | instskip(NEXT) | instid1(VALU_DEP_2)
	v_cmp_le_u32_e32 vcc_lo, s12, v4
	v_cndmask_b32_e32 v5, v5, v6, vcc_lo
	v_subrev_nc_u32_e32 v7, s12, v4
	s_delay_alu instid0(VALU_DEP_1) | instskip(SKIP_1) | instid1(VALU_DEP_2)
	v_dual_add_nc_u32 v6, 1, v5 :: v_dual_cndmask_b32 v4, v4, v7, vcc_lo
	v_xor_b32_e32 v7, s47, v10
	v_cmp_le_u32_e32 vcc_lo, s12, v4
	s_delay_alu instid0(VALU_DEP_3) | instskip(NEXT) | instid1(VALU_DEP_1)
	v_dual_cndmask_b32 v4, v5, v6 :: v_dual_mov_b32 v5, v3
	v_xor_b32_e32 v4, v4, v7
	s_delay_alu instid0(VALU_DEP_1) | instskip(SKIP_1) | instid1(VALU_DEP_2)
	v_sub_nc_u32_e32 v11, v4, v7
	v_mul_u64_e32 v[6:7], s[30:31], v[2:3]
	v_sub_nc_u32_e32 v4, 0, v11
	s_delay_alu instid0(VALU_DEP_1) | instskip(NEXT) | instid1(VALU_DEP_1)
	v_max_i32_e32 v4, v11, v4
	v_mul_u64_e32 v[8:9], s[20:21], v[4:5]
	s_delay_alu instid0(VALU_DEP_4) | instskip(NEXT) | instid1(VALU_DEP_1)
	v_mul_lo_u32 v5, v7, s63
	v_dual_sub_nc_u32 v2, v2, v5 :: v_dual_add_nc_u32 v5, 1, v7
	s_delay_alu instid0(VALU_DEP_3) | instskip(NEXT) | instid1(VALU_DEP_2)
	v_mul_lo_u32 v6, v9, s62
	v_cmp_le_u32_e32 vcc_lo, s63, v2
	s_delay_alu instid0(VALU_DEP_2) | instskip(SKIP_2) | instid1(VALU_DEP_3)
	v_sub_nc_u32_e32 v4, v4, v6
	v_subrev_nc_u32_e32 v6, s63, v2
	v_ashrrev_i32_e32 v9, 31, v11
	v_subrev_nc_u32_e32 v8, s62, v4
	v_cmp_le_u32_e64 s0, s62, v4
	v_dual_cndmask_b32 v5, v7, v5, vcc_lo :: v_dual_bitop2_b32 v7, s65, v10 bitop3:0x14
	s_delay_alu instid0(VALU_DEP_2) | instskip(NEXT) | instid1(VALU_DEP_2)
	v_dual_cndmask_b32 v4, v4, v8, s0 :: v_dual_cndmask_b32 v2, v2, v6, vcc_lo
	v_add_nc_u32_e32 v6, 1, v5
	s_delay_alu instid0(VALU_DEP_2) | instskip(NEXT) | instid1(VALU_DEP_3)
	v_subrev_nc_u32_e32 v8, s62, v4
	v_cmp_le_u32_e32 vcc_lo, s63, v2
	s_delay_alu instid0(VALU_DEP_3) | instskip(SKIP_2) | instid1(VALU_DEP_3)
	v_cndmask_b32_e32 v2, v5, v6, vcc_lo
	v_cmp_le_u32_e32 vcc_lo, s62, v4
	v_mul_lo_u32 v6, v11, s46
	v_dual_cndmask_b32 v4, v4, v8, vcc_lo :: v_dual_bitop2_b32 v2, v2, v7 bitop3:0x14
	s_and_not1_b32 vcc_lo, exec_lo, s1
	s_delay_alu instid0(VALU_DEP_1) | instskip(NEXT) | instid1(VALU_DEP_2)
	v_xor_b32_e32 v8, v4, v9
	v_dual_sub_nc_u32 v4, v0, v6 :: v_dual_sub_nc_u32 v5, v2, v7
	s_delay_alu instid0(VALU_DEP_2)
	v_sub_nc_u32_e32 v6, v8, v9
	s_cbranch_vccnz .LBB56_17
; %bb.4:                                ;   in Loop: Header=BB56_3 Depth=1
	s_delay_alu instid0(VALU_DEP_2) | instskip(NEXT) | instid1(VALU_DEP_2)
	v_mul_lo_u32 v2, v5, s13
	v_mul_lo_u32 v8, v6, s14
	;; [unrolled: 1-line block ×3, first 2 shown]
	v_mov_b32_e32 v13, 0
	s_mov_b32 s2, 0
	s_mov_b64 s[50:51], s[22:23]
	s_delay_alu instid0(VALU_DEP_4) | instskip(NEXT) | instid1(VALU_DEP_4)
	v_subrev_nc_u32_e32 v7, s19, v2
	v_subrev_nc_u32_e32 v14, s28, v8
	s_delay_alu instid0(VALU_DEP_4)
	v_subrev_nc_u32_e32 v15, s29, v9
	s_branch .LBB56_6
.LBB56_5:                               ;   in Loop: Header=BB56_6 Depth=2
	s_add_co_i32 s2, s2, 1
	s_add_nc_u64 s[50:51], s[50:51], s[26:27]
	s_cmp_eq_u32 s2, s40
	s_cbranch_scc1 .LBB56_17
.LBB56_6:                               ;   Parent Loop BB56_3 Depth=1
                                        ; =>  This Loop Header: Depth=2
                                        ;       Child Loop BB56_9 Depth 3
                                        ;         Child Loop BB56_12 Depth 4
                                        ;           Child Loop BB56_15 Depth 5
	s_and_not1_b32 vcc_lo, exec_lo, s45
	s_cbranch_vccnz .LBB56_5
; %bb.7:                                ;   in Loop: Header=BB56_6 Depth=2
	s_mul_u64 s[52:53], s[2:3], s[36:37]
	s_mov_b32 s49, 0
	s_mov_b64 s[54:55], s[50:51]
	s_branch .LBB56_9
.LBB56_8:                               ;   in Loop: Header=BB56_9 Depth=3
	s_add_co_i32 s49, s49, 1
	s_add_nc_u64 s[54:55], s[54:55], s[24:25]
	s_cmp_eq_u32 s49, s42
	s_cbranch_scc1 .LBB56_5
.LBB56_9:                               ;   Parent Loop BB56_3 Depth=1
                                        ;     Parent Loop BB56_6 Depth=2
                                        ; =>    This Loop Header: Depth=3
                                        ;         Child Loop BB56_12 Depth 4
                                        ;           Child Loop BB56_15 Depth 5
	s_and_not1_b32 vcc_lo, exec_lo, s60
	s_cbranch_vccnz .LBB56_8
; %bb.10:                               ;   in Loop: Header=BB56_9 Depth=3
	v_mad_u32 v2, s49, s16, v7
	s_mov_b32 s66, 0
	s_mov_b64 s[56:57], s[54:55]
	s_delay_alu instid0(VALU_DEP_1)
	v_add_nc_u64_e32 v[8:9], s[52:53], v[2:3]
	v_cmp_gt_i32_e32 vcc_lo, 0, v2
	v_cmp_le_i32_e64 s0, s36, v2
	s_or_b32 s67, vcc_lo, s0
	v_mul_u64_e32 v[8:9], s[38:39], v[8:9]
	s_branch .LBB56_12
.LBB56_11:                              ;   in Loop: Header=BB56_12 Depth=4
	s_add_co_i32 s66, s66, 1
	s_add_nc_u64 s[56:57], s[56:57], s[34:35]
	s_cmp_eq_u32 s66, s48
	s_cbranch_scc1 .LBB56_8
.LBB56_12:                              ;   Parent Loop BB56_3 Depth=1
                                        ;     Parent Loop BB56_6 Depth=2
                                        ;       Parent Loop BB56_9 Depth=3
                                        ; =>      This Loop Header: Depth=4
                                        ;           Child Loop BB56_15 Depth 5
	s_and_not1_b32 vcc_lo, exec_lo, s61
	s_cbranch_vccnz .LBB56_11
; %bb.13:                               ;   in Loop: Header=BB56_12 Depth=4
	v_mad_u32 v2, s66, s17, v14
	s_mov_b64 s[58:59], s[56:57]
	s_mov_b32 s69, s34
	s_delay_alu instid0(VALU_DEP_1)
	v_add_nc_u64_e32 v[16:17], v[8:9], v[2:3]
	v_cmp_gt_i32_e32 vcc_lo, 0, v2
	v_cmp_le_i32_e64 s0, s38, v2
	v_mov_b32_e32 v2, v15
	s_or_b32 s0, vcc_lo, s0
	v_mad_nc_u64_u32 v[10:11], v16, s6, s[4:5]
	s_or_b32 s68, s67, s0
	s_delay_alu instid0(VALU_DEP_1) | instskip(NEXT) | instid1(VALU_DEP_1)
	v_mad_u32 v11, v17, s6, v11
	v_mad_u32 v11, v16, s7, v11
	s_branch .LBB56_15
.LBB56_14:                              ;   in Loop: Header=BB56_15 Depth=5
	s_wait_xcnt 0x0
	s_or_b32 exec_lo, exec_lo, s0
	v_add_nc_u32_e32 v2, s18, v2
	s_add_co_i32 s69, s69, -1
	s_add_nc_u64 s[58:59], s[58:59], 1
	s_cmp_eq_u32 s69, 0
	s_cbranch_scc1 .LBB56_11
.LBB56_15:                              ;   Parent Loop BB56_3 Depth=1
                                        ;     Parent Loop BB56_6 Depth=2
                                        ;       Parent Loop BB56_9 Depth=3
                                        ;         Parent Loop BB56_12 Depth=4
                                        ; =>        This Inner Loop Header: Depth=5
	v_cmp_gt_i32_e32 vcc_lo, 0, v2
	v_cmp_le_i32_e64 s0, s6, v2
	s_or_b32 s0, vcc_lo, s0
	s_delay_alu instid0(SALU_CYCLE_1) | instskip(NEXT) | instid1(SALU_CYCLE_1)
	s_nor_b32 s70, s68, s0
	s_and_saveexec_b32 s0, s70
	s_cbranch_execz .LBB56_14
; %bb.16:                               ;   in Loop: Header=BB56_15 Depth=5
	v_add_nc_u64_e32 v[16:17], v[10:11], v[2:3]
	s_load_i8 s70, s[58:59], 0x0
	global_load_i8 v16, v[16:17], off
	s_wait_loadcnt 0x0
	s_wait_kmcnt 0x0
	v_mad_i32_i24 v13, s70, v16, v13
	s_branch .LBB56_14
.LBB56_17:                              ;   in Loop: Header=BB56_3 Depth=1
	s_delay_alu instid0(VALU_DEP_1) | instskip(SKIP_1) | instid1(VALU_DEP_1)
	v_ashrrev_i32_e32 v7, 31, v6
	s_and_not1_b32 vcc_lo, exec_lo, s41
	v_mad_nc_i64_i32 v[6:7], v5, s44, v[6:7]
	v_ashrrev_i32_e32 v5, 31, v4
	s_delay_alu instid0(VALU_DEP_2) | instskip(NEXT) | instid1(VALU_DEP_1)
	v_mul_u64_e32 v[6:7], s[46:47], v[6:7]
	v_lshl_add_u64 v[6:7], v[6:7], 2, s[8:9]
	s_delay_alu instid0(VALU_DEP_1)
	v_lshl_add_u64 v[4:5], v[4:5], 2, v[6:7]
	s_cbranch_vccnz .LBB56_2
; %bb.18:                               ;   in Loop: Header=BB56_3 Depth=1
	global_load_b32 v2, v[4:5], off
	v_mul_lo_u32 v6, v13, v1
	s_wait_loadcnt 0x0
	v_cvt_i32_f32_e32 v2, v2
	s_delay_alu instid0(VALU_DEP_1)
	v_mad_u32 v13, v2, v12, v6
	s_branch .LBB56_2
.LBB56_19:
	s_endpgm
	.section	.rodata,"a",@progbits
	.p2align	6, 0x0
	.amdhsa_kernel naive_conv_ab_packed_fwd_ncdhw_int8_t_int32_t_float
		.amdhsa_group_segment_fixed_size 0
		.amdhsa_private_segment_fixed_size 0
		.amdhsa_kernarg_size 528
		.amdhsa_user_sgpr_count 2
		.amdhsa_user_sgpr_dispatch_ptr 0
		.amdhsa_user_sgpr_queue_ptr 0
		.amdhsa_user_sgpr_kernarg_segment_ptr 1
		.amdhsa_user_sgpr_dispatch_id 0
		.amdhsa_user_sgpr_kernarg_preload_length 0
		.amdhsa_user_sgpr_kernarg_preload_offset 0
		.amdhsa_user_sgpr_private_segment_size 0
		.amdhsa_wavefront_size32 1
		.amdhsa_uses_dynamic_stack 0
		.amdhsa_enable_private_segment 0
		.amdhsa_system_sgpr_workgroup_id_x 1
		.amdhsa_system_sgpr_workgroup_id_y 0
		.amdhsa_system_sgpr_workgroup_id_z 0
		.amdhsa_system_sgpr_workgroup_info 0
		.amdhsa_system_vgpr_workitem_id 0
		.amdhsa_next_free_vgpr 18
		.amdhsa_next_free_sgpr 71
		.amdhsa_named_barrier_count 0
		.amdhsa_reserve_vcc 1
		.amdhsa_float_round_mode_32 0
		.amdhsa_float_round_mode_16_64 0
		.amdhsa_float_denorm_mode_32 3
		.amdhsa_float_denorm_mode_16_64 3
		.amdhsa_fp16_overflow 0
		.amdhsa_memory_ordered 1
		.amdhsa_forward_progress 1
		.amdhsa_inst_pref_size 14
		.amdhsa_round_robin_scheduling 0
		.amdhsa_exception_fp_ieee_invalid_op 0
		.amdhsa_exception_fp_denorm_src 0
		.amdhsa_exception_fp_ieee_div_zero 0
		.amdhsa_exception_fp_ieee_overflow 0
		.amdhsa_exception_fp_ieee_underflow 0
		.amdhsa_exception_fp_ieee_inexact 0
		.amdhsa_exception_int_div_zero 0
	.end_amdhsa_kernel
	.text
.Lfunc_end56:
	.size	naive_conv_ab_packed_fwd_ncdhw_int8_t_int32_t_float, .Lfunc_end56-naive_conv_ab_packed_fwd_ncdhw_int8_t_int32_t_float
                                        ; -- End function
	.set naive_conv_ab_packed_fwd_ncdhw_int8_t_int32_t_float.num_vgpr, 18
	.set naive_conv_ab_packed_fwd_ncdhw_int8_t_int32_t_float.num_agpr, 0
	.set naive_conv_ab_packed_fwd_ncdhw_int8_t_int32_t_float.numbered_sgpr, 71
	.set naive_conv_ab_packed_fwd_ncdhw_int8_t_int32_t_float.num_named_barrier, 0
	.set naive_conv_ab_packed_fwd_ncdhw_int8_t_int32_t_float.private_seg_size, 0
	.set naive_conv_ab_packed_fwd_ncdhw_int8_t_int32_t_float.uses_vcc, 1
	.set naive_conv_ab_packed_fwd_ncdhw_int8_t_int32_t_float.uses_flat_scratch, 0
	.set naive_conv_ab_packed_fwd_ncdhw_int8_t_int32_t_float.has_dyn_sized_stack, 0
	.set naive_conv_ab_packed_fwd_ncdhw_int8_t_int32_t_float.has_recursion, 0
	.set naive_conv_ab_packed_fwd_ncdhw_int8_t_int32_t_float.has_indirect_call, 0
	.section	.AMDGPU.csdata,"",@progbits
; Kernel info:
; codeLenInByte = 1768
; TotalNumSgprs: 73
; NumVgprs: 18
; ScratchSize: 0
; MemoryBound: 0
; FloatMode: 240
; IeeeMode: 1
; LDSByteSize: 0 bytes/workgroup (compile time only)
; SGPRBlocks: 0
; VGPRBlocks: 1
; NumSGPRsForWavesPerEU: 73
; NumVGPRsForWavesPerEU: 18
; NamedBarCnt: 0
; Occupancy: 16
; WaveLimiterHint : 1
; COMPUTE_PGM_RSRC2:SCRATCH_EN: 0
; COMPUTE_PGM_RSRC2:USER_SGPR: 2
; COMPUTE_PGM_RSRC2:TRAP_HANDLER: 0
; COMPUTE_PGM_RSRC2:TGID_X_EN: 1
; COMPUTE_PGM_RSRC2:TGID_Y_EN: 0
; COMPUTE_PGM_RSRC2:TGID_Z_EN: 0
; COMPUTE_PGM_RSRC2:TIDIG_COMP_CNT: 0
	.text
	.protected	naive_conv_ab_nonpacked_fwd_ncdhw_int8_t_int32_t_float ; -- Begin function naive_conv_ab_nonpacked_fwd_ncdhw_int8_t_int32_t_float
	.globl	naive_conv_ab_nonpacked_fwd_ncdhw_int8_t_int32_t_float
	.p2align	8
	.type	naive_conv_ab_nonpacked_fwd_ncdhw_int8_t_int32_t_float,@function
naive_conv_ab_nonpacked_fwd_ncdhw_int8_t_int32_t_float: ; @naive_conv_ab_nonpacked_fwd_ncdhw_int8_t_int32_t_float
; %bb.0:
	s_load_b512 s[4:19], s[0:1], 0xb8
	s_bfe_u32 s2, ttmp6, 0x4000c
	s_and_b32 s3, ttmp6, 15
	s_add_co_i32 s2, s2, 1
	s_getreg_b32 s20, hwreg(HW_REG_IB_STS2, 6, 4)
	s_mul_i32 s2, ttmp9, s2
	s_mov_b32 s26, exec_lo
	s_add_co_i32 s3, s3, s2
	s_cmp_eq_u32 s20, 0
	s_cselect_b32 s20, ttmp9, s3
	s_wait_kmcnt 0x0
	s_abs_i32 s3, s8
	s_mul_i32 s34, s12, s11
	s_cvt_f32_u32 s2, s3
	s_delay_alu instid0(SALU_CYCLE_3) | instskip(SKIP_1) | instid1(TRANS32_DEP_1)
	v_rcp_iflag_f32_e32 v1, s2
	v_nop
	v_readfirstlane_b32 s2, v1
	s_mul_f32 s2, s2, 0x4f7ffffe
	s_delay_alu instid0(SALU_CYCLE_3) | instskip(SKIP_1) | instid1(SALU_CYCLE_2)
	s_cvt_u32_f32 s21, s2
	s_sub_co_i32 s2, 0, s3
	s_mul_i32 s2, s2, s21
	s_delay_alu instid0(SALU_CYCLE_1) | instskip(SKIP_2) | instid1(SALU_CYCLE_1)
	s_mul_hi_u32 s22, s21, s2
	s_abs_i32 s2, s20
	s_add_co_i32 s21, s21, s22
	s_mul_hi_u32 s21, s2, s21
	s_delay_alu instid0(SALU_CYCLE_1) | instskip(SKIP_2) | instid1(SALU_CYCLE_1)
	s_mul_i32 s22, s21, s3
	s_add_co_i32 s23, s21, 1
	s_sub_co_i32 s22, s2, s22
	s_sub_co_i32 s24, s22, s3
	s_cmp_ge_u32 s22, s3
	s_cselect_b32 s21, s23, s21
	s_cselect_b32 s22, s24, s22
	s_add_co_i32 s24, s21, 1
	s_cmp_ge_u32 s22, s3
	s_mul_i32 s23, s8, s7
	s_cselect_b32 s24, s24, s21
	s_abs_i32 s22, s7
	s_abs_i32 s21, s23
	s_cvt_f32_u32 s3, s22
	s_cvt_f32_u32 s7, s21
	s_delay_alu instid0(SALU_CYCLE_2) | instskip(NEXT) | instid1(SALU_CYCLE_2)
	v_rcp_iflag_f32_e32 v1, s3
	v_rcp_iflag_f32_e32 v2, s7
	s_mul_i32 s7, s34, s10
	s_mov_b32 s3, 0
	s_delay_alu instid0(TRANS32_DEP_2) | instskip(NEXT) | instid1(TRANS32_DEP_1)
	v_readfirstlane_b32 s25, v1
	v_readfirstlane_b32 s10, v2
	v_cmpx_gt_i32_e64 s7, v0
	s_cbranch_execz .LBB57_19
; %bb.1:
	s_ashr_i32 s28, s20, 31
	s_ashr_i32 s26, s8, 31
	s_mul_f32 s25, s25, 0x4f7ffffe
	s_xor_b32 s26, s28, s26
	s_mul_f32 s10, s10, 0x4f7ffffe
	s_xor_b32 s24, s24, s26
	s_cvt_u32_f32 s25, s25
	s_sub_co_i32 s29, s24, s26
	s_sub_co_i32 s24, 0, s22
	s_cvt_u32_f32 s10, s10
	s_mul_i32 s24, s24, s25
	s_sub_co_i32 s31, 0, s21
	s_mul_hi_u32 s26, s25, s24
	s_abs_i32 s24, s29
	s_add_co_i32 s26, s25, s26
	s_mov_b32 s25, s3
	s_mov_b32 s27, s3
	s_mul_i32 s31, s31, s10
	s_mul_u64 s[26:27], s[24:25], s[26:27]
	s_mul_hi_u32 s25, s10, s31
	s_ashr_i32 s30, s29, 31
	s_add_co_i32 s26, s10, s25
	s_mul_i32 s10, s27, s22
	s_mul_i32 s29, s29, s8
	s_sub_co_i32 s8, s24, s10
	s_ashr_i32 s31, s23, 31
	s_sub_co_i32 s72, s20, s29
	s_sub_co_i32 s10, s8, s22
	s_cmp_ge_u32 s8, s22
	s_mov_b32 s27, s3
	s_cselect_b32 s8, s10, s8
	s_load_b512 s[36:51], s[0:1], 0x68
	s_sub_co_i32 s10, s8, s22
	s_cmp_ge_u32 s8, s22
	s_mul_u64 s[22:23], s[2:3], s[26:27]
	s_cselect_b32 s8, s10, s8
	s_load_b128 s[68:71], s[0:1], 0xa8
	s_xor_b32 s8, s8, s30
	s_xor_b32 s10, s28, s31
	s_sub_co_i32 s74, s8, s30
	s_mul_i32 s8, s23, s21
	s_load_b128 s[28:31], s[0:1], 0xf8
	s_sub_co_i32 s2, s2, s8
	s_add_co_i32 s8, s23, 1
	s_sub_co_i32 s20, s2, s21
	s_cmp_ge_u32 s2, s21
	s_load_b512 s[52:67], s[0:1], 0x28
	s_cselect_b32 s8, s8, s23
	s_cselect_b32 s2, s20, s2
	s_add_co_i32 s33, s8, 1
	s_cmp_ge_u32 s2, s21
	s_load_b256 s[20:27], s[0:1], 0x0
	s_cselect_b32 s2, s33, s8
	s_load_b32 s8, s[0:1], 0x108
	s_xor_b32 s2, s2, s10
	s_ashr_i32 s75, s74, 31
	s_sub_co_i32 s76, s2, s10
	s_ashr_i32 s73, s72, 31
	s_ashr_i32 s77, s76, 31
	s_wait_kmcnt 0x0
	s_mul_u64 s[70:71], s[70:71], s[74:75]
	s_mul_u64 s[68:69], s[68:69], s[76:77]
	;; [unrolled: 1-line block ×3, first 2 shown]
	s_load_b64 s[82:83], s[0:1], 0x20
	s_lshl_b64 s[78:79], s[70:71], 2
	s_lshl_b64 s[80:81], s[68:69], 2
	;; [unrolled: 1-line block ×3, first 2 shown]
	s_cmp_gt_i32 s9, 0
	s_wait_xcnt 0x0
	s_load_b32 s0, s[0:1], 0x11c
	s_cselect_b32 s33, -1, 0
	s_cmp_gt_i32 s30, 0
	s_mul_u64 s[62:63], s[62:63], s[74:75]
	s_cselect_b32 s68, -1, 0
	s_cmp_gt_i32 s31, 0
	s_mul_u64 s[60:61], s[60:61], s[76:77]
	s_cselect_b32 s69, -1, 0
	s_cmp_gt_i32 s8, 0
	s_add_nc_u64 s[20:21], s[20:21], s[62:63]
	s_wait_xcnt 0x0
	s_cselect_b32 s1, -1, 0
	s_abs_i32 s70, s12
	s_add_nc_u64 s[20:21], s[20:21], s[60:61]
	s_cvt_f32_u32 s2, s70
	s_abs_i32 s71, s11
	s_wait_kmcnt 0x0
	s_add_nc_u64 s[60:61], s[82:83], s[78:79]
	s_mul_u64 s[40:41], s[40:41], s[72:73]
	v_rcp_iflag_f32_e32 v1, s2
	s_add_nc_u64 s[10:11], s[60:61], s[80:81]
	s_cvt_f32_u32 s2, s71
	s_add_nc_u64 s[10:11], s[10:11], s[50:51]
	v_cmp_neq_f64_e64 s50, s[24:25], 1.0
	v_cmp_neq_f64_e64 s51, s[26:27], 0
	s_abs_i32 s72, s34
	v_readfirstlane_b32 s35, v1
	v_cvt_i32_f64_e32 v1, s[24:25]
	v_cvt_i32_f64_e32 v14, s[26:27]
	v_rcp_iflag_f32_e32 v2, s2
	s_sub_co_i32 s25, 0, s70
	s_mul_f32 s2, s35, 0x4f7ffffe
	s_cvt_f32_u32 s35, s72
	s_and_b32 s73, s0, 0xffff
	s_sub_co_i32 s27, 0, s72
	s_cvt_u32_f32 s2, s2
	v_rcp_iflag_f32_e32 v3, s35
	v_readfirstlane_b32 s24, v2
	s_mul_u64 s[42:43], s[42:43], s[76:77]
	s_mul_i32 s25, s25, s2
	s_add_nc_u64 s[40:41], s[40:41], s[42:43]
	s_ashr_i32 s74, s12, 31
	s_mul_f32 s0, s24, 0x4f7ffffe
	v_readfirstlane_b32 s26, v3
	s_mul_hi_u32 s24, s2, s25
	v_mov_b32_e32 v3, 0
	s_add_co_i32 s24, s2, s24
	s_cvt_u32_f32 s0, s0
	s_mul_f32 s2, s26, 0x4f7ffffe
	s_sub_co_i32 s26, 0, s71
	s_mov_b32 s25, s3
	s_mul_i32 s26, s26, s0
	s_cvt_u32_f32 s2, s2
	s_mul_hi_u32 s26, s0, s26
	s_ashr_i32 s75, s34, 31
	s_add_co_i32 s26, s0, s26
	s_mul_i32 s0, s27, s2
	s_mov_b32 s27, s3
	s_mul_hi_u32 s0, s2, s0
	s_or_b32 s76, s50, s51
	s_add_co_i32 s34, s2, s0
	s_mov_b32 s35, s3
	s_add_nc_u64 s[22:23], s[22:23], s[40:41]
	s_mov_b32 s77, 0
	s_branch .LBB57_3
.LBB57_2:                               ;   in Loop: Header=BB57_3 Depth=1
	v_add_nc_u32_e32 v0, s73, v0
	s_delay_alu instid0(VALU_DEP_2) | instskip(NEXT) | instid1(VALU_DEP_2)
	v_cvt_f32_i32_e32 v2, v2
	v_cmp_le_i32_e32 vcc_lo, s7, v0
	global_store_b32 v[4:5], v2, off
	s_or_b32 s77, vcc_lo, s77
	s_wait_xcnt 0x0
	s_and_not1_b32 exec_lo, exec_lo, s77
	s_cbranch_execz .LBB57_19
.LBB57_3:                               ; =>This Loop Header: Depth=1
                                        ;     Child Loop BB57_6 Depth 2
                                        ;       Child Loop BB57_9 Depth 3
                                        ;         Child Loop BB57_12 Depth 4
                                        ;           Child Loop BB57_15 Depth 5
	v_dual_sub_nc_u32 v2, 0, v0 :: v_dual_ashrrev_i32 v10, 31, v0
	s_delay_alu instid0(VALU_DEP_1) | instskip(NEXT) | instid1(VALU_DEP_1)
	v_max_i32_e32 v2, v0, v2
	v_mul_u64_e32 v[4:5], s[24:25], v[2:3]
	s_delay_alu instid0(VALU_DEP_1) | instskip(NEXT) | instid1(VALU_DEP_1)
	v_mul_lo_u32 v4, v5, s70
	v_dual_add_nc_u32 v6, 1, v5 :: v_dual_sub_nc_u32 v4, v2, v4
	s_delay_alu instid0(VALU_DEP_1) | instskip(NEXT) | instid1(VALU_DEP_2)
	v_cmp_le_u32_e32 vcc_lo, s70, v4
	v_cndmask_b32_e32 v5, v5, v6, vcc_lo
	v_subrev_nc_u32_e32 v7, s70, v4
	s_delay_alu instid0(VALU_DEP_1) | instskip(SKIP_1) | instid1(VALU_DEP_2)
	v_dual_add_nc_u32 v6, 1, v5 :: v_dual_cndmask_b32 v4, v4, v7, vcc_lo
	v_xor_b32_e32 v7, s74, v10
	v_cmp_le_u32_e32 vcc_lo, s70, v4
	s_delay_alu instid0(VALU_DEP_3) | instskip(NEXT) | instid1(VALU_DEP_1)
	v_dual_cndmask_b32 v4, v5, v6 :: v_dual_mov_b32 v5, v3
	v_xor_b32_e32 v4, v4, v7
	s_delay_alu instid0(VALU_DEP_1) | instskip(SKIP_1) | instid1(VALU_DEP_2)
	v_sub_nc_u32_e32 v11, v4, v7
	v_mul_u64_e32 v[6:7], s[34:35], v[2:3]
	v_sub_nc_u32_e32 v4, 0, v11
	s_delay_alu instid0(VALU_DEP_1) | instskip(NEXT) | instid1(VALU_DEP_1)
	v_max_i32_e32 v4, v11, v4
	v_mul_u64_e32 v[8:9], s[26:27], v[4:5]
	s_delay_alu instid0(VALU_DEP_4) | instskip(NEXT) | instid1(VALU_DEP_1)
	v_mul_lo_u32 v5, v7, s72
	v_dual_sub_nc_u32 v2, v2, v5 :: v_dual_add_nc_u32 v5, 1, v7
	s_delay_alu instid0(VALU_DEP_3) | instskip(NEXT) | instid1(VALU_DEP_2)
	v_mul_lo_u32 v6, v9, s71
	v_cmp_le_u32_e32 vcc_lo, s72, v2
	s_delay_alu instid0(VALU_DEP_2) | instskip(SKIP_2) | instid1(VALU_DEP_3)
	v_sub_nc_u32_e32 v4, v4, v6
	v_subrev_nc_u32_e32 v6, s72, v2
	v_ashrrev_i32_e32 v9, 31, v11
	v_subrev_nc_u32_e32 v8, s71, v4
	v_cmp_le_u32_e64 s0, s71, v4
	v_dual_cndmask_b32 v5, v7, v5, vcc_lo :: v_dual_bitop2_b32 v7, s75, v10 bitop3:0x14
	s_delay_alu instid0(VALU_DEP_2) | instskip(NEXT) | instid1(VALU_DEP_2)
	v_dual_cndmask_b32 v4, v4, v8, s0 :: v_dual_cndmask_b32 v2, v2, v6, vcc_lo
	v_add_nc_u32_e32 v6, 1, v5
	s_delay_alu instid0(VALU_DEP_2) | instskip(NEXT) | instid1(VALU_DEP_3)
	v_subrev_nc_u32_e32 v8, s71, v4
	v_cmp_le_u32_e32 vcc_lo, s72, v2
	s_delay_alu instid0(VALU_DEP_3) | instskip(SKIP_2) | instid1(VALU_DEP_3)
	v_cndmask_b32_e32 v2, v5, v6, vcc_lo
	v_mul_lo_u32 v5, v11, s12
	v_cmp_le_u32_e32 vcc_lo, s71, v4
	v_dual_cndmask_b32 v4, v4, v8, vcc_lo :: v_dual_bitop2_b32 v2, v2, v7 bitop3:0x14
	s_and_not1_b32 vcc_lo, exec_lo, s33
	s_delay_alu instid0(VALU_DEP_3) | instskip(NEXT) | instid1(VALU_DEP_2)
	v_sub_nc_u32_e32 v6, v0, v5
	v_dual_sub_nc_u32 v4, v2, v7 :: v_dual_bitop2_b32 v8, v4, v9 bitop3:0x14
	s_delay_alu instid0(VALU_DEP_1)
	v_dual_mov_b32 v2, 0 :: v_dual_sub_nc_u32 v8, v8, v9
	s_cbranch_vccnz .LBB57_17
; %bb.4:                                ;   in Loop: Header=BB57_3 Depth=1
	s_delay_alu instid0(VALU_DEP_2) | instskip(NEXT) | instid1(VALU_DEP_2)
	v_mul_lo_u32 v2, v4, s13
	v_mul_lo_u32 v7, v8, s14
	;; [unrolled: 1-line block ×3, first 2 shown]
	s_mov_b32 s2, 0
	s_mov_b64 s[40:41], s[22:23]
	s_delay_alu instid0(VALU_DEP_3) | instskip(NEXT) | instid1(VALU_DEP_3)
	v_subrev_nc_u32_e32 v5, s19, v2
	v_subrev_nc_u32_e32 v7, s28, v7
	s_delay_alu instid0(VALU_DEP_3)
	v_subrev_nc_u32_e32 v9, s29, v9
	v_mov_b32_e32 v2, 0
	s_branch .LBB57_6
.LBB57_5:                               ;   in Loop: Header=BB57_6 Depth=2
	s_add_co_i32 s2, s2, 1
	s_add_nc_u64 s[40:41], s[40:41], s[38:39]
	s_cmp_eq_u32 s2, s9
	s_cbranch_scc1 .LBB57_17
.LBB57_6:                               ;   Parent Loop BB57_3 Depth=1
                                        ; =>  This Loop Header: Depth=2
                                        ;       Child Loop BB57_9 Depth 3
                                        ;         Child Loop BB57_12 Depth 4
                                        ;           Child Loop BB57_15 Depth 5
	s_and_not1_b32 vcc_lo, exec_lo, s68
	s_cbranch_vccnz .LBB57_5
; %bb.7:                                ;   in Loop: Header=BB57_6 Depth=2
	s_mul_u64 s[42:43], s[58:59], s[2:3]
	s_mov_b32 s78, 0
	s_add_nc_u64 s[42:43], s[20:21], s[42:43]
	s_mov_b64 s[50:51], s[40:41]
	s_branch .LBB57_9
.LBB57_8:                               ;   in Loop: Header=BB57_9 Depth=3
	s_add_co_i32 s78, s78, 1
	s_add_nc_u64 s[50:51], s[50:51], s[36:37]
	s_cmp_eq_u32 s78, s30
	s_cbranch_scc1 .LBB57_5
.LBB57_9:                               ;   Parent Loop BB57_3 Depth=1
                                        ;     Parent Loop BB57_6 Depth=2
                                        ; =>    This Loop Header: Depth=3
                                        ;         Child Loop BB57_12 Depth 4
                                        ;           Child Loop BB57_15 Depth 5
	s_and_not1_b32 vcc_lo, exec_lo, s69
	s_cbranch_vccnz .LBB57_8
; %bb.10:                               ;   in Loop: Header=BB57_9 Depth=3
	v_mad_u32 v12, s78, s16, v5
	s_mov_b32 s79, 0
	s_mov_b64 s[60:61], s[50:51]
	s_delay_alu instid0(VALU_DEP_1)
	v_mad_nc_u64_u32 v[10:11], s56, v12, s[42:43]
	v_cmp_gt_i32_e32 vcc_lo, 0, v12
	v_cmp_le_i32_e64 s0, s4, v12
	s_or_b32 s80, vcc_lo, s0
	v_mad_u32 v11, s57, v12, v11
	s_branch .LBB57_12
.LBB57_11:                              ;   in Loop: Header=BB57_12 Depth=4
	s_add_co_i32 s79, s79, 1
	s_add_nc_u64 s[60:61], s[60:61], s[66:67]
	s_cmp_eq_u32 s79, s31
	s_cbranch_scc1 .LBB57_8
.LBB57_12:                              ;   Parent Loop BB57_3 Depth=1
                                        ;     Parent Loop BB57_6 Depth=2
                                        ;       Parent Loop BB57_9 Depth=3
                                        ; =>      This Loop Header: Depth=4
                                        ;           Child Loop BB57_15 Depth 5
	s_and_not1_b32 vcc_lo, exec_lo, s1
	s_cbranch_vccnz .LBB57_11
; %bb.13:                               ;   in Loop: Header=BB57_12 Depth=4
	v_mad_u32 v15, s79, s17, v7
	s_mov_b64 s[62:63], s[60:61]
	s_mov_b32 s82, s8
	s_delay_alu instid0(VALU_DEP_1) | instskip(SKIP_3) | instid1(SALU_CYCLE_1)
	v_mad_nc_u64_u32 v[12:13], s54, v15, v[10:11]
	v_cmp_gt_i32_e32 vcc_lo, 0, v15
	v_cmp_le_i32_e64 s0, s5, v15
	s_or_b32 s0, vcc_lo, s0
	s_or_b32 s81, s80, s0
	v_mad_u32 v13, s55, v15, v13
	v_mov_b32_e32 v15, v9
	s_branch .LBB57_15
.LBB57_14:                              ;   in Loop: Header=BB57_15 Depth=5
	s_wait_xcnt 0x0
	s_or_b32 exec_lo, exec_lo, s0
	v_add_nc_u32_e32 v15, s18, v15
	s_add_co_i32 s82, s82, -1
	s_add_nc_u64 s[62:63], s[62:63], s[64:65]
	s_cmp_eq_u32 s82, 0
	s_cbranch_scc1 .LBB57_11
.LBB57_15:                              ;   Parent Loop BB57_3 Depth=1
                                        ;     Parent Loop BB57_6 Depth=2
                                        ;       Parent Loop BB57_9 Depth=3
                                        ;         Parent Loop BB57_12 Depth=4
                                        ; =>        This Inner Loop Header: Depth=5
	s_delay_alu instid0(VALU_DEP_1) | instskip(SKIP_2) | instid1(SALU_CYCLE_1)
	v_cmp_gt_i32_e32 vcc_lo, 0, v15
	v_cmp_le_i32_e64 s0, s6, v15
	s_or_b32 s0, vcc_lo, s0
	s_nor_b32 s83, s81, s0
	s_delay_alu instid0(SALU_CYCLE_1)
	s_and_saveexec_b32 s0, s83
	s_cbranch_execz .LBB57_14
; %bb.16:                               ;   in Loop: Header=BB57_15 Depth=5
	v_mad_nc_u64_u32 v[16:17], s52, v15, v[12:13]
	s_load_i8 s83, s[62:63], 0x0
	s_delay_alu instid0(VALU_DEP_1)
	v_mad_u32 v17, s53, v15, v17
	global_load_i8 v16, v[16:17], off
	s_wait_loadcnt 0x0
	s_wait_kmcnt 0x0
	v_mad_i32_i24 v2, s83, v16, v2
	s_branch .LBB57_14
.LBB57_17:                              ;   in Loop: Header=BB57_3 Depth=1
	s_delay_alu instid0(VALU_DEP_1) | instskip(NEXT) | instid1(VALU_DEP_3)
	v_dual_ashrrev_i32 v9, 31, v8 :: v_dual_ashrrev_i32 v7, 31, v6
	v_ashrrev_i32_e32 v5, 31, v4
	s_and_not1_b32 vcc_lo, exec_lo, s76
	s_delay_alu instid0(VALU_DEP_2) | instskip(NEXT) | instid1(VALU_DEP_3)
	v_mul_u64_e32 v[8:9], s[46:47], v[8:9]
	v_mul_u64_e32 v[6:7], s[44:45], v[6:7]
	s_delay_alu instid0(VALU_DEP_3) | instskip(NEXT) | instid1(VALU_DEP_3)
	v_mul_u64_e32 v[4:5], s[48:49], v[4:5]
	v_lshl_add_u64 v[8:9], v[8:9], 2, s[10:11]
	s_delay_alu instid0(VALU_DEP_1) | instskip(NEXT) | instid1(VALU_DEP_1)
	v_lshl_add_u64 v[6:7], v[6:7], 2, v[8:9]
	v_lshl_add_u64 v[4:5], v[4:5], 2, v[6:7]
	s_cbranch_vccnz .LBB57_2
; %bb.18:                               ;   in Loop: Header=BB57_3 Depth=1
	global_load_b32 v6, v[4:5], off
	v_mul_lo_u32 v2, v2, v1
	s_wait_loadcnt 0x0
	v_cvt_i32_f32_e32 v6, v6
	s_delay_alu instid0(VALU_DEP_1)
	v_mad_u32 v2, v6, v14, v2
	s_branch .LBB57_2
.LBB57_19:
	s_endpgm
	.section	.rodata,"a",@progbits
	.p2align	6, 0x0
	.amdhsa_kernel naive_conv_ab_nonpacked_fwd_ncdhw_int8_t_int32_t_float
		.amdhsa_group_segment_fixed_size 0
		.amdhsa_private_segment_fixed_size 0
		.amdhsa_kernarg_size 528
		.amdhsa_user_sgpr_count 2
		.amdhsa_user_sgpr_dispatch_ptr 0
		.amdhsa_user_sgpr_queue_ptr 0
		.amdhsa_user_sgpr_kernarg_segment_ptr 1
		.amdhsa_user_sgpr_dispatch_id 0
		.amdhsa_user_sgpr_kernarg_preload_length 0
		.amdhsa_user_sgpr_kernarg_preload_offset 0
		.amdhsa_user_sgpr_private_segment_size 0
		.amdhsa_wavefront_size32 1
		.amdhsa_uses_dynamic_stack 0
		.amdhsa_enable_private_segment 0
		.amdhsa_system_sgpr_workgroup_id_x 1
		.amdhsa_system_sgpr_workgroup_id_y 0
		.amdhsa_system_sgpr_workgroup_id_z 0
		.amdhsa_system_sgpr_workgroup_info 0
		.amdhsa_system_vgpr_workitem_id 0
		.amdhsa_next_free_vgpr 18
		.amdhsa_next_free_sgpr 84
		.amdhsa_named_barrier_count 0
		.amdhsa_reserve_vcc 1
		.amdhsa_float_round_mode_32 0
		.amdhsa_float_round_mode_16_64 0
		.amdhsa_float_denorm_mode_32 3
		.amdhsa_float_denorm_mode_16_64 3
		.amdhsa_fp16_overflow 0
		.amdhsa_memory_ordered 1
		.amdhsa_forward_progress 1
		.amdhsa_inst_pref_size 14
		.amdhsa_round_robin_scheduling 0
		.amdhsa_exception_fp_ieee_invalid_op 0
		.amdhsa_exception_fp_denorm_src 0
		.amdhsa_exception_fp_ieee_div_zero 0
		.amdhsa_exception_fp_ieee_overflow 0
		.amdhsa_exception_fp_ieee_underflow 0
		.amdhsa_exception_fp_ieee_inexact 0
		.amdhsa_exception_int_div_zero 0
	.end_amdhsa_kernel
	.text
.Lfunc_end57:
	.size	naive_conv_ab_nonpacked_fwd_ncdhw_int8_t_int32_t_float, .Lfunc_end57-naive_conv_ab_nonpacked_fwd_ncdhw_int8_t_int32_t_float
                                        ; -- End function
	.set naive_conv_ab_nonpacked_fwd_ncdhw_int8_t_int32_t_float.num_vgpr, 18
	.set naive_conv_ab_nonpacked_fwd_ncdhw_int8_t_int32_t_float.num_agpr, 0
	.set naive_conv_ab_nonpacked_fwd_ncdhw_int8_t_int32_t_float.numbered_sgpr, 84
	.set naive_conv_ab_nonpacked_fwd_ncdhw_int8_t_int32_t_float.num_named_barrier, 0
	.set naive_conv_ab_nonpacked_fwd_ncdhw_int8_t_int32_t_float.private_seg_size, 0
	.set naive_conv_ab_nonpacked_fwd_ncdhw_int8_t_int32_t_float.uses_vcc, 1
	.set naive_conv_ab_nonpacked_fwd_ncdhw_int8_t_int32_t_float.uses_flat_scratch, 0
	.set naive_conv_ab_nonpacked_fwd_ncdhw_int8_t_int32_t_float.has_dyn_sized_stack, 0
	.set naive_conv_ab_nonpacked_fwd_ncdhw_int8_t_int32_t_float.has_recursion, 0
	.set naive_conv_ab_nonpacked_fwd_ncdhw_int8_t_int32_t_float.has_indirect_call, 0
	.section	.AMDGPU.csdata,"",@progbits
; Kernel info:
; codeLenInByte = 1720
; TotalNumSgprs: 86
; NumVgprs: 18
; ScratchSize: 0
; MemoryBound: 0
; FloatMode: 240
; IeeeMode: 1
; LDSByteSize: 0 bytes/workgroup (compile time only)
; SGPRBlocks: 0
; VGPRBlocks: 1
; NumSGPRsForWavesPerEU: 86
; NumVGPRsForWavesPerEU: 18
; NamedBarCnt: 0
; Occupancy: 16
; WaveLimiterHint : 1
; COMPUTE_PGM_RSRC2:SCRATCH_EN: 0
; COMPUTE_PGM_RSRC2:USER_SGPR: 2
; COMPUTE_PGM_RSRC2:TRAP_HANDLER: 0
; COMPUTE_PGM_RSRC2:TGID_X_EN: 1
; COMPUTE_PGM_RSRC2:TGID_Y_EN: 0
; COMPUTE_PGM_RSRC2:TGID_Z_EN: 0
; COMPUTE_PGM_RSRC2:TIDIG_COMP_CNT: 0
	.text
	.protected	naive_conv_ab_packed_fwd_ndhwc_float_double_float ; -- Begin function naive_conv_ab_packed_fwd_ndhwc_float_double_float
	.globl	naive_conv_ab_packed_fwd_ndhwc_float_double_float
	.p2align	8
	.type	naive_conv_ab_packed_fwd_ndhwc_float_double_float,@function
naive_conv_ab_packed_fwd_ndhwc_float_double_float: ; @naive_conv_ab_packed_fwd_ndhwc_float_double_float
; %bb.0:
	s_load_b512 s[4:19], s[0:1], 0xb8
	s_bfe_u32 s2, ttmp6, 0x4000c
	s_and_b32 s3, ttmp6, 15
	s_add_co_i32 s2, s2, 1
	s_getreg_b32 s20, hwreg(HW_REG_IB_STS2, 6, 4)
	s_mul_i32 s2, ttmp9, s2
	s_mov_b32 s26, exec_lo
	s_add_co_i32 s3, s3, s2
	s_cmp_eq_u32 s20, 0
	s_cselect_b32 s20, ttmp9, s3
	s_wait_kmcnt 0x0
	s_abs_i32 s3, s10
	s_mul_i32 s56, s12, s8
	s_cvt_f32_u32 s2, s3
	s_mul_i32 s33, s56, s11
	s_delay_alu instid0(SALU_CYCLE_2) | instskip(SKIP_1) | instid1(TRANS32_DEP_1)
	v_rcp_iflag_f32_e32 v1, s2
	v_nop
	v_readfirstlane_b32 s2, v1
	s_mul_f32 s2, s2, 0x4f7ffffe
	s_delay_alu instid0(SALU_CYCLE_3) | instskip(SKIP_1) | instid1(SALU_CYCLE_2)
	s_cvt_u32_f32 s21, s2
	s_sub_co_i32 s2, 0, s3
	s_mul_i32 s2, s2, s21
	s_delay_alu instid0(SALU_CYCLE_1) | instskip(SKIP_2) | instid1(SALU_CYCLE_1)
	s_mul_hi_u32 s22, s21, s2
	s_abs_i32 s2, s20
	s_add_co_i32 s21, s21, s22
	s_mul_hi_u32 s21, s2, s21
	s_delay_alu instid0(SALU_CYCLE_1) | instskip(SKIP_2) | instid1(SALU_CYCLE_1)
	s_mul_i32 s22, s21, s3
	s_add_co_i32 s23, s21, 1
	s_sub_co_i32 s22, s2, s22
	s_sub_co_i32 s24, s22, s3
	s_cmp_ge_u32 s22, s3
	s_cselect_b32 s21, s23, s21
	s_cselect_b32 s22, s24, s22
	s_add_co_i32 s23, s21, 1
	s_cmp_ge_u32 s22, s3
	s_mul_i32 s22, s10, s7
	s_cselect_b32 s24, s23, s21
	s_abs_i32 s21, s7
	s_abs_i32 s7, s22
	s_cvt_f32_u32 s3, s21
	s_cvt_f32_u32 s23, s7
	s_delay_alu instid0(SALU_CYCLE_2) | instskip(NEXT) | instid1(SALU_CYCLE_2)
	v_rcp_iflag_f32_e32 v1, s3
	v_rcp_iflag_f32_e32 v2, s23
	s_mov_b32 s3, 0
	s_delay_alu instid0(TRANS32_DEP_2) | instskip(NEXT) | instid1(TRANS32_DEP_1)
	v_readfirstlane_b32 s25, v1
	v_readfirstlane_b32 s23, v2
	v_cmpx_gt_i32_e64 s33, v0
	s_cbranch_execz .LBB58_21
; %bb.1:
	s_ashr_i32 s28, s20, 31
	s_ashr_i32 s47, s10, 31
	s_mul_f32 s25, s25, 0x4f7ffffe
	s_xor_b32 s26, s28, s47
	s_mul_f32 s23, s23, 0x4f7ffffe
	s_xor_b32 s24, s24, s26
	s_cvt_u32_f32 s25, s25
	s_sub_co_i32 s29, s24, s26
	s_sub_co_i32 s24, 0, s21
	s_cvt_u32_f32 s23, s23
	s_mul_i32 s24, s24, s25
	s_sub_co_i32 s31, 0, s7
	s_mul_hi_u32 s26, s25, s24
	s_abs_i32 s24, s29
	s_add_co_i32 s26, s25, s26
	s_mov_b32 s25, s3
	s_mov_b32 s27, s3
	s_mul_i32 s31, s31, s23
	s_mul_u64 s[26:27], s[24:25], s[26:27]
	s_mul_hi_u32 s25, s23, s31
	s_ashr_i32 s26, s22, 31
	s_add_co_i32 s22, s23, s25
	s_mul_i32 s23, s27, s21
	s_ashr_i32 s30, s29, 31
	s_mul_i32 s29, s29, s10
	s_sub_co_i32 s23, s24, s23
	s_sub_co_i32 s50, s20, s29
	;; [unrolled: 1-line block ×3, first 2 shown]
	s_cmp_ge_u32 s23, s21
	s_load_b64 s[34:35], s[0:1], 0x108
	s_cselect_b32 s20, s20, s23
	s_mov_b32 s46, s10
	s_sub_co_i32 s23, s20, s21
	s_cmp_ge_u32 s20, s21
	s_mov_b32 s58, s11
	s_cselect_b32 s20, s23, s20
	s_mov_b32 s23, s3
	s_xor_b32 s24, s20, s30
	s_mul_u64 s[20:21], s[2:3], s[22:23]
	s_sub_co_i32 s52, s24, s30
	s_mul_i32 s20, s21, s7
	s_xor_b32 s37, s28, s26
	s_sub_co_i32 s2, s2, s20
	s_load_b128 s[28:31], s[0:1], 0xf8
	s_add_co_i32 s20, s21, 1
	s_sub_co_i32 s22, s2, s7
	s_cmp_ge_u32 s2, s7
	s_mov_b32 s10, s12
	s_cselect_b32 s36, s20, s21
	s_cselect_b32 s2, s22, s2
	s_add_co_i32 s38, s36, 1
	s_load_b256 s[20:27], s[0:1], 0x0
	s_cmp_ge_u32 s2, s7
	s_mov_b32 s42, s8
	s_cselect_b32 s2, s38, s36
	s_wait_kmcnt 0x0
	s_mul_i32 s36, s35, s8
	s_xor_b32 s2, s2, s37
	s_ashr_i32 s53, s52, 31
	s_ashr_i32 s59, s11, 31
	s_ashr_i32 s11, s12, 31
	s_sub_co_i32 s54, s2, s37
	s_mul_u64 s[46:47], s[52:53], s[46:47]
	s_ashr_i32 s37, s36, 31
	s_ashr_i32 s51, s50, 31
	s_mul_u64 s[58:59], s[10:11], s[58:59]
	s_ashr_i32 s55, s54, 31
	s_ashr_i32 s43, s8, 31
	s_add_nc_u64 s[62:63], s[46:47], s[50:51]
	s_mul_u64 s[58:59], s[58:59], s[36:37]
	s_mul_i32 s64, s35, s9
	s_mul_u64 s[48:49], s[54:55], s[42:43]
	s_mul_u64 s[58:59], s[58:59], s[62:63]
	s_ashr_i32 s39, s4, 31
	s_ashr_i32 s41, s5, 31
	;; [unrolled: 1-line block ×8, first 2 shown]
	s_lshl_b64 s[58:59], s[58:59], 2
	s_lshl_b64 s[48:49], s[48:49], 2
	s_cmp_lt_i32 s30, 1
	s_mul_i32 s2, s50, s13
	s_cselect_b32 s11, -1, 0
	s_sub_co_i32 s19, s2, s19
	s_cmp_gt_i32 s31, 0
	v_cmp_neq_f64_e64 s2, s[24:25], 1.0
	s_cselect_b32 s42, -1, 0
	s_cmp_gt_i32 s34, 0
	v_cmp_neq_f64_e64 s13, s[26:27], 0
	s_cselect_b32 s66, -1, 0
	s_cmp_gt_i32 s9, 0
	s_load_b32 s57, s[0:1], 0x11c
	s_cselect_b32 s67, -1, 0
	s_abs_i32 s68, s8
	s_wait_xcnt 0x0
	s_load_b64 s[0:1], s[0:1], 0x20
	s_cvt_f32_u32 s38, s68
	s_abs_i32 s69, s12
	s_mov_b32 s40, s5
	s_abs_i32 s70, s56
	v_rcp_iflag_f32_e32 v1, s38
	s_mov_b32 s38, s4
	s_cvt_f32_u32 s4, s69
	s_mov_b32 s44, s30
	s_mov_b32 s46, s31
	s_sub_co_i32 s31, 0, s70
	s_mov_b32 s60, s9
	v_nop
	v_readfirstlane_b32 s5, v1
	v_rcp_iflag_f32_e32 v1, s4
	v_mov_b32_e32 v3, 0
	s_ashr_i32 s73, s56, 31
	s_mov_b32 s51, s3
	s_mul_f32 s4, s5, 0x4f7ffffe
	s_cvt_f32_u32 s5, s70
	s_wait_kmcnt 0x0
	s_and_b32 s72, s57, 0xffff
	v_readfirstlane_b32 s30, v1
	s_add_nc_u64 s[0:1], s[0:1], s[58:59]
	v_rcp_iflag_f32_e32 v2, s5
	s_cvt_u32_f32 s12, s4
	s_add_nc_u64 s[4:5], s[0:1], s[48:49]
	s_sub_co_i32 s0, 0, s68
	s_or_b32 s71, s2, s13
	s_mul_i32 s0, s0, s12
	s_mul_f32 s1, s30, 0x4f7ffffe
	v_nop
	v_readfirstlane_b32 s2, v2
	s_mul_hi_u32 s0, s12, s0
	s_mul_u64 s[58:59], s[34:35], s[60:61]
	s_add_co_i32 s12, s12, s0
	s_cvt_u32_f32 s0, s1
	s_mul_f32 s1, s2, 0x4f7ffffe
	s_sub_co_i32 s2, 0, s69
	s_mul_u64 s[56:57], s[58:59], s[46:47]
	s_mul_i32 s2, s2, s0
	s_cvt_u32_f32 s1, s1
	s_mul_hi_u32 s2, s0, s2
	s_mov_b32 s13, s3
	s_add_co_i32 s30, s0, s2
	s_mul_i32 s0, s31, s1
	s_mov_b32 s31, s3
	s_mul_hi_u32 s0, s1, s0
	s_lshl_b64 s[58:59], s[58:59], 2
	s_add_co_i32 s50, s1, s0
	s_mul_u64 s[0:1], s[60:61], s[54:55]
	s_mul_u64 s[54:55], s[6:7], s[40:41]
	s_lshl_b64 s[0:1], s[0:1], 2
	s_lshl_b64 s[60:61], s[60:61], 2
	s_add_nc_u64 s[20:21], s[20:21], s[0:1]
	s_mul_u64 s[0:1], s[54:55], s[38:39]
	s_mul_u64 s[54:55], s[56:57], s[44:45]
	s_mul_u64 s[0:1], s[0:1], s[52:53]
	s_lshl_b64 s[56:57], s[56:57], 2
	s_lshl_b64 s[52:53], s[0:1], 2
	s_mov_b32 s35, 0
	s_branch .LBB58_3
.LBB58_2:                               ;   in Loop: Header=BB58_3 Depth=1
	s_delay_alu instid0(VALU_DEP_1) | instskip(SKIP_1) | instid1(VALU_DEP_1)
	v_cvt_f32_f64_e32 v1, v[6:7]
	v_add_nc_u32_e32 v0, s72, v0
	v_cmp_le_i32_e32 vcc_lo, s33, v0
	s_or_b32 s35, vcc_lo, s35
	global_store_b32 v[4:5], v1, off
	s_wait_xcnt 0x0
	s_and_not1_b32 exec_lo, exec_lo, s35
	s_cbranch_execz .LBB58_21
.LBB58_3:                               ; =>This Loop Header: Depth=1
                                        ;     Child Loop BB58_8 Depth 2
                                        ;       Child Loop BB58_11 Depth 3
                                        ;         Child Loop BB58_14 Depth 4
                                        ;           Child Loop BB58_17 Depth 5
	v_sub_nc_u32_e32 v1, 0, v0
	s_mov_b32 s39, -1
	s_delay_alu instid0(VALU_DEP_1) | instskip(NEXT) | instid1(VALU_DEP_1)
	v_max_i32_e32 v2, v0, v1
	v_mul_u64_e32 v[4:5], s[12:13], v[2:3]
	s_delay_alu instid0(VALU_DEP_1) | instskip(NEXT) | instid1(VALU_DEP_1)
	v_mul_lo_u32 v1, v5, s68
	v_sub_nc_u32_e32 v4, v2, v1
	v_add_nc_u32_e32 v1, 1, v5
	s_delay_alu instid0(VALU_DEP_2) | instskip(NEXT) | instid1(VALU_DEP_2)
	v_cmp_le_u32_e32 vcc_lo, s68, v4
	v_dual_cndmask_b32 v5, v5, v1, vcc_lo :: v_dual_ashrrev_i32 v1, 31, v0
	v_subrev_nc_u32_e32 v6, s68, v4
	s_delay_alu instid0(VALU_DEP_1) | instskip(NEXT) | instid1(VALU_DEP_1)
	v_dual_cndmask_b32 v4, v4, v6, vcc_lo :: v_dual_add_nc_u32 v6, 1, v5
	v_cmp_le_u32_e32 vcc_lo, s68, v4
	s_delay_alu instid0(VALU_DEP_2) | instskip(NEXT) | instid1(VALU_DEP_1)
	v_dual_cndmask_b32 v4, v5, v6, vcc_lo :: v_dual_bitop2_b32 v7, s43, v1 bitop3:0x14
	v_dual_mov_b32 v5, v3 :: v_dual_bitop2_b32 v4, v4, v7 bitop3:0x14
	s_delay_alu instid0(VALU_DEP_1) | instskip(SKIP_1) | instid1(VALU_DEP_1)
	v_sub_nc_u32_e32 v8, v4, v7
	v_mul_u64_e32 v[6:7], s[50:51], v[2:3]
	v_mul_lo_u32 v6, v7, s70
	s_delay_alu instid0(VALU_DEP_3) | instskip(NEXT) | instid1(VALU_DEP_1)
	v_sub_nc_u32_e32 v4, 0, v8
	v_max_i32_e32 v4, v8, v4
	s_delay_alu instid0(VALU_DEP_1) | instskip(NEXT) | instid1(VALU_DEP_1)
	v_mul_u64_e32 v[10:11], s[30:31], v[4:5]
	v_mul_lo_u32 v5, v11, s69
	s_delay_alu instid0(VALU_DEP_1) | instskip(SKIP_1) | instid1(VALU_DEP_2)
	v_dual_sub_nc_u32 v4, v4, v5 :: v_dual_sub_nc_u32 v5, v2, v6
	v_mul_lo_u32 v6, v8, s8
	v_subrev_nc_u32_e32 v2, s69, v4
	s_delay_alu instid0(VALU_DEP_3) | instskip(SKIP_2) | instid1(VALU_DEP_1)
	v_subrev_nc_u32_e32 v9, s70, v5
	v_cmp_le_u32_e32 vcc_lo, s69, v4
	v_cmp_le_u32_e64 s0, s70, v5
	v_dual_cndmask_b32 v2, v4, v2, vcc_lo :: v_dual_cndmask_b32 v5, v5, v9, s0
	v_sub_nc_u32_e32 v4, v0, v6
	s_and_not1_b32 vcc_lo, exec_lo, s11
	s_delay_alu instid0(VALU_DEP_2) | instskip(NEXT) | instid1(VALU_DEP_3)
	v_cmp_le_u32_e64 s2, s69, v2
	v_cmp_le_u32_e64 s1, s70, v5
	s_cbranch_vccnz .LBB58_5
; %bb.4:                                ;   in Loop: Header=BB58_3 Depth=1
	v_ashrrev_i32_e32 v5, 31, v4
	s_mov_b32 s39, 0
.LBB58_5:                               ;   in Loop: Header=BB58_3 Depth=1
	v_dual_add_nc_u32 v6, 1, v7 :: v_dual_ashrrev_i32 v8, 31, v8
	s_and_not1_b32 vcc_lo, exec_lo, s39
	s_delay_alu instid0(VALU_DEP_1) | instskip(SKIP_1) | instid1(VALU_DEP_1)
	v_dual_cndmask_b32 v6, v7, v6, s0 :: v_dual_bitop2_b32 v1, s73, v1 bitop3:0x14
	v_subrev_nc_u32_e32 v7, s69, v2
	v_dual_cndmask_b32 v2, v2, v7, s2 :: v_dual_add_nc_u32 v9, 1, v6
	s_delay_alu instid0(VALU_DEP_1) | instskip(NEXT) | instid1(VALU_DEP_1)
	v_cndmask_b32_e64 v6, v6, v9, s1
	v_xor_b32_e32 v9, v6, v1
	s_delay_alu instid0(VALU_DEP_3) | instskip(SKIP_1) | instid1(VALU_DEP_2)
	v_xor_b32_e32 v2, v2, v8
	v_mov_b64_e32 v[6:7], 0
	v_dual_sub_nc_u32 v1, v9, v1 :: v_dual_sub_nc_u32 v8, v2, v8
	s_cbranch_vccnz .LBB58_19
; %bb.6:                                ;   in Loop: Header=BB58_3 Depth=1
	v_ashrrev_i32_e32 v5, 31, v4
	s_delay_alu instid0(VALU_DEP_2) | instskip(NEXT) | instid1(VALU_DEP_3)
	v_mul_lo_u32 v9, v1, s14
	v_mul_lo_u32 v12, v8, s15
	s_mov_b32 s1, 0
	s_mov_b32 s2, s19
	v_lshl_add_u64 v[6:7], v[4:5], 2, s[48:49]
	s_delay_alu instid0(VALU_DEP_1) | instskip(NEXT) | instid1(VALU_DEP_4)
	v_mad_nc_u64_u32 v[10:11], s54, v6, s[22:23]
	v_subrev_nc_u32_e32 v9, s28, v9
	s_delay_alu instid0(VALU_DEP_4) | instskip(NEXT) | instid1(VALU_DEP_3)
	v_subrev_nc_u32_e32 v24, s29, v12
	v_mad_u32 v2, s55, v6, v11
	s_delay_alu instid0(VALU_DEP_1)
	v_mad_u32 v11, s54, v7, v2
	v_mov_b64_e32 v[6:7], 0
	s_branch .LBB58_8
.LBB58_7:                               ;   in Loop: Header=BB58_8 Depth=2
	s_delay_alu instid0(VALU_DEP_1)
	v_add_nc_u64_e32 v[10:11], s[56:57], v[10:11]
	s_add_co_i32 s1, s1, 1
	s_add_co_i32 s2, s2, s16
	s_cmp_eq_u32 s1, s44
	s_cbranch_scc1 .LBB58_19
.LBB58_8:                               ;   Parent Loop BB58_3 Depth=1
                                        ; =>  This Loop Header: Depth=2
                                        ;       Child Loop BB58_11 Depth 3
                                        ;         Child Loop BB58_14 Depth 4
                                        ;           Child Loop BB58_17 Depth 5
	s_and_not1_b32 vcc_lo, exec_lo, s42
	s_cbranch_vccnz .LBB58_7
; %bb.9:                                ;   in Loop: Header=BB58_8 Depth=2
	s_mul_i32 s0, s1, s16
	s_delay_alu instid0(VALU_DEP_1)
	v_mov_b64_e32 v[12:13], v[10:11]
	s_add_co_i32 s0, s0, s19
	v_mov_b32_e32 v14, v9
	s_cmp_lt_i32 s0, 0
	s_mul_u64 s[62:63], s[40:41], s[2:3]
	s_cselect_b32 s45, -1, 0
	s_cmp_ge_i32 s0, s38
	s_mov_b32 s39, 0
	s_cselect_b32 s0, -1, 0
	s_delay_alu instid0(SALU_CYCLE_1)
	s_or_b32 s45, s45, s0
	s_branch .LBB58_11
.LBB58_10:                              ;   in Loop: Header=BB58_11 Depth=3
	v_add_nc_u64_e32 v[12:13], s[58:59], v[12:13]
	v_add_nc_u32_e32 v14, s17, v14
	s_add_co_i32 s39, s39, 1
	s_delay_alu instid0(SALU_CYCLE_1)
	s_cmp_eq_u32 s39, s46
	s_cbranch_scc1 .LBB58_7
.LBB58_11:                              ;   Parent Loop BB58_3 Depth=1
                                        ;     Parent Loop BB58_8 Depth=2
                                        ; =>    This Loop Header: Depth=3
                                        ;         Child Loop BB58_14 Depth 4
                                        ;           Child Loop BB58_17 Depth 5
	s_and_not1_b32 vcc_lo, exec_lo, s66
	s_cbranch_vccnz .LBB58_10
; %bb.12:                               ;   in Loop: Header=BB58_11 Depth=3
	v_mad_u32 v2, s39, s17, v9
	v_mov_b32_e32 v15, v3
	v_mov_b64_e32 v[18:19], v[12:13]
	s_mov_b32 s47, 0
	s_delay_alu instid0(VALU_DEP_3) | instskip(SKIP_4) | instid1(SALU_CYCLE_1)
	v_cmp_gt_i32_e32 vcc_lo, 0, v2
	v_cmp_le_i32_e64 s0, s40, v2
	v_mov_b32_e32 v2, v24
	v_add_nc_u64_e32 v[16:17], s[62:63], v[14:15]
	s_or_b32 s0, vcc_lo, s0
	s_or_b32 s74, s45, s0
	s_delay_alu instid0(VALU_DEP_1)
	v_mul_u64_e32 v[16:17], s[6:7], v[16:17]
	s_branch .LBB58_14
.LBB58_13:                              ;   in Loop: Header=BB58_14 Depth=4
	v_add_nc_u64_e32 v[18:19], s[60:61], v[18:19]
	v_add_nc_u32_e32 v2, s18, v2
	s_add_co_i32 s47, s47, 1
	s_delay_alu instid0(SALU_CYCLE_1)
	s_cmp_eq_u32 s47, s34
	s_cbranch_scc1 .LBB58_10
.LBB58_14:                              ;   Parent Loop BB58_3 Depth=1
                                        ;     Parent Loop BB58_8 Depth=2
                                        ;       Parent Loop BB58_11 Depth=3
                                        ; =>      This Loop Header: Depth=4
                                        ;           Child Loop BB58_17 Depth 5
	s_and_not1_b32 vcc_lo, exec_lo, s67
	s_cbranch_vccnz .LBB58_13
; %bb.15:                               ;   in Loop: Header=BB58_14 Depth=4
	s_delay_alu instid0(VALU_DEP_1) | instskip(SKIP_2) | instid1(VALU_DEP_2)
	v_add_nc_u64_e32 v[20:21], v[16:17], v[2:3]
	v_mad_u32 v15, s47, s18, v24
	s_mov_b32 s75, s9
	v_lshl_add_u64 v[22:23], v[20:21], 2, s[52:53]
	s_delay_alu instid0(VALU_DEP_2) | instskip(NEXT) | instid1(VALU_DEP_2)
	v_cmp_gt_i32_e32 vcc_lo, 0, v15
	v_mad_nc_u64_u32 v[20:21], s64, v22, s[20:21]
	v_cmp_le_i32_e64 s0, s6, v15
	s_or_b32 s0, vcc_lo, s0
	s_delay_alu instid0(SALU_CYCLE_1) | instskip(SKIP_1) | instid1(VALU_DEP_1)
	s_nor_b32 s0, s74, s0
	v_mad_u32 v21, s65, v22, v21
	v_mad_u32 v21, s64, v23, v21
	v_mov_b64_e32 v[22:23], v[18:19]
	s_branch .LBB58_17
.LBB58_16:                              ;   in Loop: Header=BB58_17 Depth=5
	s_wait_xcnt 0x0
	s_or_b32 exec_lo, exec_lo, s76
	s_delay_alu instid0(VALU_DEP_2) | instskip(SKIP_2) | instid1(SALU_CYCLE_1)
	v_add_nc_u64_e32 v[20:21], 4, v[20:21]
	v_add_nc_u64_e32 v[22:23], 4, v[22:23]
	s_add_co_i32 s75, s75, -1
	s_cmp_eq_u32 s75, 0
	s_cbranch_scc1 .LBB58_13
.LBB58_17:                              ;   Parent Loop BB58_3 Depth=1
                                        ;     Parent Loop BB58_8 Depth=2
                                        ;       Parent Loop BB58_11 Depth=3
                                        ;         Parent Loop BB58_14 Depth=4
                                        ; =>        This Inner Loop Header: Depth=5
	s_and_saveexec_b32 s76, s0
	s_cbranch_execz .LBB58_16
; %bb.18:                               ;   in Loop: Header=BB58_17 Depth=5
	global_load_b32 v15, v[20:21], off
	global_load_b32 v25, v[22:23], off
	s_wait_loadcnt 0x1
	v_cvt_f64_f32_e32 v[26:27], v15
	s_wait_loadcnt 0x0
	v_cvt_f64_f32_e32 v[28:29], v25
	s_delay_alu instid0(VALU_DEP_1)
	v_fmac_f64_e32 v[6:7], v[26:27], v[28:29]
	s_branch .LBB58_16
.LBB58_19:                              ;   in Loop: Header=BB58_3 Depth=1
	s_delay_alu instid0(VALU_DEP_1) | instskip(SKIP_1) | instid1(VALU_DEP_1)
	v_ashrrev_i32_e32 v9, 31, v8
	s_and_not1_b32 vcc_lo, exec_lo, s71
	v_mad_nc_i64_i32 v[8:9], v1, s10, v[8:9]
	s_delay_alu instid0(VALU_DEP_1) | instskip(NEXT) | instid1(VALU_DEP_1)
	v_mul_u64_e32 v[8:9], s[36:37], v[8:9]
	v_lshl_add_u64 v[8:9], v[8:9], 2, s[4:5]
	s_delay_alu instid0(VALU_DEP_1)
	v_lshl_add_u64 v[4:5], v[4:5], 2, v[8:9]
	s_cbranch_vccnz .LBB58_2
; %bb.20:                               ;   in Loop: Header=BB58_3 Depth=1
	global_load_b32 v1, v[4:5], off
	s_wait_loadcnt 0x0
	v_cvt_f64_f32_e32 v[8:9], v1
	s_delay_alu instid0(VALU_DEP_1) | instskip(NEXT) | instid1(VALU_DEP_1)
	v_mul_f64_e32 v[8:9], s[26:27], v[8:9]
	v_fmac_f64_e32 v[8:9], s[24:25], v[6:7]
	s_delay_alu instid0(VALU_DEP_1)
	v_mov_b64_e32 v[6:7], v[8:9]
	s_branch .LBB58_2
.LBB58_21:
	s_endpgm
	.section	.rodata,"a",@progbits
	.p2align	6, 0x0
	.amdhsa_kernel naive_conv_ab_packed_fwd_ndhwc_float_double_float
		.amdhsa_group_segment_fixed_size 0
		.amdhsa_private_segment_fixed_size 0
		.amdhsa_kernarg_size 528
		.amdhsa_user_sgpr_count 2
		.amdhsa_user_sgpr_dispatch_ptr 0
		.amdhsa_user_sgpr_queue_ptr 0
		.amdhsa_user_sgpr_kernarg_segment_ptr 1
		.amdhsa_user_sgpr_dispatch_id 0
		.amdhsa_user_sgpr_kernarg_preload_length 0
		.amdhsa_user_sgpr_kernarg_preload_offset 0
		.amdhsa_user_sgpr_private_segment_size 0
		.amdhsa_wavefront_size32 1
		.amdhsa_uses_dynamic_stack 0
		.amdhsa_enable_private_segment 0
		.amdhsa_system_sgpr_workgroup_id_x 1
		.amdhsa_system_sgpr_workgroup_id_y 0
		.amdhsa_system_sgpr_workgroup_id_z 0
		.amdhsa_system_sgpr_workgroup_info 0
		.amdhsa_system_vgpr_workitem_id 0
		.amdhsa_next_free_vgpr 30
		.amdhsa_next_free_sgpr 77
		.amdhsa_named_barrier_count 0
		.amdhsa_reserve_vcc 1
		.amdhsa_float_round_mode_32 0
		.amdhsa_float_round_mode_16_64 0
		.amdhsa_float_denorm_mode_32 3
		.amdhsa_float_denorm_mode_16_64 3
		.amdhsa_fp16_overflow 0
		.amdhsa_memory_ordered 1
		.amdhsa_forward_progress 1
		.amdhsa_inst_pref_size 15
		.amdhsa_round_robin_scheduling 0
		.amdhsa_exception_fp_ieee_invalid_op 0
		.amdhsa_exception_fp_denorm_src 0
		.amdhsa_exception_fp_ieee_div_zero 0
		.amdhsa_exception_fp_ieee_overflow 0
		.amdhsa_exception_fp_ieee_underflow 0
		.amdhsa_exception_fp_ieee_inexact 0
		.amdhsa_exception_int_div_zero 0
	.end_amdhsa_kernel
	.text
.Lfunc_end58:
	.size	naive_conv_ab_packed_fwd_ndhwc_float_double_float, .Lfunc_end58-naive_conv_ab_packed_fwd_ndhwc_float_double_float
                                        ; -- End function
	.set naive_conv_ab_packed_fwd_ndhwc_float_double_float.num_vgpr, 30
	.set naive_conv_ab_packed_fwd_ndhwc_float_double_float.num_agpr, 0
	.set naive_conv_ab_packed_fwd_ndhwc_float_double_float.numbered_sgpr, 77
	.set naive_conv_ab_packed_fwd_ndhwc_float_double_float.num_named_barrier, 0
	.set naive_conv_ab_packed_fwd_ndhwc_float_double_float.private_seg_size, 0
	.set naive_conv_ab_packed_fwd_ndhwc_float_double_float.uses_vcc, 1
	.set naive_conv_ab_packed_fwd_ndhwc_float_double_float.uses_flat_scratch, 0
	.set naive_conv_ab_packed_fwd_ndhwc_float_double_float.has_dyn_sized_stack, 0
	.set naive_conv_ab_packed_fwd_ndhwc_float_double_float.has_recursion, 0
	.set naive_conv_ab_packed_fwd_ndhwc_float_double_float.has_indirect_call, 0
	.section	.AMDGPU.csdata,"",@progbits
; Kernel info:
; codeLenInByte = 1908
; TotalNumSgprs: 79
; NumVgprs: 30
; ScratchSize: 0
; MemoryBound: 0
; FloatMode: 240
; IeeeMode: 1
; LDSByteSize: 0 bytes/workgroup (compile time only)
; SGPRBlocks: 0
; VGPRBlocks: 1
; NumSGPRsForWavesPerEU: 79
; NumVGPRsForWavesPerEU: 30
; NamedBarCnt: 0
; Occupancy: 16
; WaveLimiterHint : 1
; COMPUTE_PGM_RSRC2:SCRATCH_EN: 0
; COMPUTE_PGM_RSRC2:USER_SGPR: 2
; COMPUTE_PGM_RSRC2:TRAP_HANDLER: 0
; COMPUTE_PGM_RSRC2:TGID_X_EN: 1
; COMPUTE_PGM_RSRC2:TGID_Y_EN: 0
; COMPUTE_PGM_RSRC2:TGID_Z_EN: 0
; COMPUTE_PGM_RSRC2:TIDIG_COMP_CNT: 0
	.text
	.protected	naive_conv_ab_nonpacked_fwd_ndhwc_float_double_float ; -- Begin function naive_conv_ab_nonpacked_fwd_ndhwc_float_double_float
	.globl	naive_conv_ab_nonpacked_fwd_ndhwc_float_double_float
	.p2align	8
	.type	naive_conv_ab_nonpacked_fwd_ndhwc_float_double_float,@function
naive_conv_ab_nonpacked_fwd_ndhwc_float_double_float: ; @naive_conv_ab_nonpacked_fwd_ndhwc_float_double_float
; %bb.0:
	s_load_b512 s[4:19], s[0:1], 0xb8
	s_bfe_u32 s2, ttmp6, 0x4000c
	s_and_b32 s3, ttmp6, 15
	s_add_co_i32 s2, s2, 1
	s_getreg_b32 s20, hwreg(HW_REG_IB_STS2, 6, 4)
	s_mul_i32 s2, ttmp9, s2
	s_mov_b32 s25, exec_lo
	s_add_co_i32 s3, s3, s2
	s_cmp_eq_u32 s20, 0
	s_cselect_b32 s20, ttmp9, s3
	s_wait_kmcnt 0x0
	s_abs_i32 s3, s10
	s_mul_i32 s82, s12, s8
	s_cvt_f32_u32 s2, s3
	s_delay_alu instid0(SALU_CYCLE_3) | instskip(SKIP_1) | instid1(TRANS32_DEP_1)
	v_rcp_iflag_f32_e32 v1, s2
	v_nop
	v_readfirstlane_b32 s2, v1
	s_mul_f32 s2, s2, 0x4f7ffffe
	s_delay_alu instid0(SALU_CYCLE_3) | instskip(SKIP_1) | instid1(SALU_CYCLE_2)
	s_cvt_u32_f32 s21, s2
	s_sub_co_i32 s2, 0, s3
	s_mul_i32 s2, s2, s21
	s_delay_alu instid0(SALU_CYCLE_1) | instskip(SKIP_2) | instid1(SALU_CYCLE_1)
	s_mul_hi_u32 s22, s21, s2
	s_abs_i32 s2, s20
	s_add_co_i32 s21, s21, s22
	s_mul_hi_u32 s21, s2, s21
	s_delay_alu instid0(SALU_CYCLE_1) | instskip(SKIP_2) | instid1(SALU_CYCLE_1)
	s_mul_i32 s22, s21, s3
	s_add_co_i32 s23, s21, 1
	s_sub_co_i32 s22, s2, s22
	s_sub_co_i32 s24, s22, s3
	s_cmp_ge_u32 s22, s3
	s_cselect_b32 s21, s23, s21
	s_cselect_b32 s22, s24, s22
	s_add_co_i32 s23, s21, 1
	s_cmp_ge_u32 s22, s3
	s_mul_i32 s22, s10, s7
	s_cselect_b32 s23, s23, s21
	s_abs_i32 s21, s7
	s_abs_i32 s33, s22
	s_cvt_f32_u32 s3, s21
	s_cvt_f32_u32 s7, s33
	s_delay_alu instid0(SALU_CYCLE_2) | instskip(NEXT) | instid1(SALU_CYCLE_2)
	v_rcp_iflag_f32_e32 v1, s3
	v_rcp_iflag_f32_e32 v2, s7
	s_mul_i32 s7, s82, s11
	s_mov_b32 s3, 0
	s_delay_alu instid0(TRANS32_DEP_2) | instskip(NEXT) | instid1(TRANS32_DEP_1)
	v_readfirstlane_b32 s24, v1
	v_readfirstlane_b32 s11, v2
	v_cmpx_gt_i32_e64 s7, v0
	s_cbranch_execz .LBB59_21
; %bb.1:
	s_mul_f32 s24, s24, 0x4f7ffffe
	s_ashr_i32 s56, s20, 31
	s_ashr_i32 s25, s10, 31
	s_mul_f32 s11, s11, 0x4f7ffffe
	s_cvt_u32_f32 s26, s24
	s_xor_b32 s25, s56, s25
	s_sub_co_i32 s24, 0, s21
	s_xor_b32 s23, s23, s25
	s_mul_i32 s24, s24, s26
	s_cvt_u32_f32 s11, s11
	s_sub_co_i32 s23, s23, s25
	s_mul_hi_u32 s25, s26, s24
	s_sub_co_i32 s28, 0, s33
	s_abs_i32 s24, s23
	s_add_co_i32 s26, s26, s25
	s_mov_b32 s25, s3
	s_mov_b32 s27, s3
	s_mul_i32 s28, s28, s11
	s_mul_u64 s[26:27], s[24:25], s[26:27]
	s_mul_hi_u32 s25, s11, s28
	s_ashr_i32 s26, s22, 31
	s_add_co_i32 s22, s11, s25
	s_mul_i32 s11, s27, s21
	s_ashr_i32 s57, s23, 31
	s_mul_i32 s23, s23, s10
	s_sub_co_i32 s11, s24, s11
	s_sub_co_i32 s10, s20, s23
	;; [unrolled: 1-line block ×3, first 2 shown]
	s_cmp_ge_u32 s11, s21
	s_mov_b32 s23, s3
	s_cselect_b32 s11, s20, s11
	s_mul_u64 s[34:35], s[2:3], s[22:23]
	s_sub_co_i32 s20, s11, s21
	s_cmp_ge_u32 s11, s21
	s_load_b512 s[36:51], s[0:1], 0x68
	s_cselect_b32 s11, s20, s11
	s_xor_b32 s56, s56, s26
	s_xor_b32 s11, s11, s57
	s_load_b256 s[20:27], s[0:1], 0x0
	s_sub_co_i32 s68, s11, s57
	s_mul_i32 s11, s35, s33
	s_clause 0x1
	s_load_b128 s[28:31], s[0:1], 0xf8
	s_load_b128 s[52:55], s[0:1], 0xa8
	s_sub_co_i32 s2, s2, s11
	s_add_co_i32 s11, s35, 1
	s_sub_co_i32 s34, s2, s33
	s_cmp_ge_u32 s2, s33
	v_mov_b32_e32 v3, 0
	s_cselect_b32 s11, s11, s35
	s_cselect_b32 s2, s34, s2
	s_add_co_i32 s34, s11, 1
	s_cmp_ge_u32 s2, s33
	s_load_b32 s33, s[0:1], 0x108
	s_cselect_b32 s2, s34, s11
	s_ashr_i32 s69, s68, 31
	s_xor_b32 s2, s2, s56
	s_ashr_i32 s11, s10, 31
	s_sub_co_i32 s70, s2, s56
	s_load_b64 s[34:35], s[0:1], 0x20
	s_ashr_i32 s71, s70, 31
	s_wait_kmcnt 0x0
	v_cmp_neq_f64_e64 s2, s[24:25], 1.0
	v_cmp_neq_f64_e64 s80, s[26:27], 0
	s_mul_u64 s[54:55], s[54:55], s[68:69]
	s_mul_u64 s[52:53], s[52:53], s[10:11]
	;; [unrolled: 1-line block ×3, first 2 shown]
	s_lshl_b64 s[54:55], s[54:55], 2
	s_lshl_b64 s[78:79], s[52:53], 2
	;; [unrolled: 1-line block ×3, first 2 shown]
	s_cmp_lt_i32 s30, 1
	s_mul_i32 s10, s10, s13
	s_cselect_b32 s72, -1, 0
	s_sub_co_i32 s19, s10, s19
	s_cmp_gt_i32 s31, 0
	s_load_b32 s13, s[0:1], 0x11c
	s_cselect_b32 s73, -1, 0
	s_cmp_gt_i32 s33, 0
	s_cselect_b32 s74, -1, 0
	s_cmp_gt_i32 s9, 0
	s_cselect_b32 s75, -1, 0
	s_abs_i32 s76, s8
	s_abs_i32 s77, s12
	s_cvt_f32_u32 s10, s76
	s_cvt_f32_u32 s12, s77
	s_ashr_i32 s81, s8, 31
	s_lshl_b64 s[40:41], s[40:41], 2
	v_rcp_iflag_f32_e32 v1, s10
	s_add_nc_u64 s[10:11], s[34:35], s[54:55]
	s_load_b512 s[52:67], s[0:1], 0x28
	s_wait_xcnt 0x0
	s_add_nc_u64 s[0:1], s[10:11], s[78:79]
	v_rcp_iflag_f32_e32 v2, s12
	s_abs_i32 s78, s82
	s_add_nc_u64 s[10:11], s[0:1], s[46:47]
	v_nop
	v_readfirstlane_b32 s12, v1
	s_cvt_f32_u32 s0, s78
	s_or_b32 s79, s2, s80
	s_wait_kmcnt 0x0
	s_and_b32 s80, s13, 0xffff
	v_readfirstlane_b32 s2, v2
	s_mul_f32 s1, s12, 0x4f7ffffe
	v_rcp_iflag_f32_e32 v1, s0
	s_mov_b32 s35, s3
	s_ashr_i32 s82, s82, 31
	s_cvt_u32_f32 s0, s1
	s_sub_co_i32 s1, 0, s76
	s_mul_f32 s2, s2, 0x4f7ffffe
	s_lshl_b64 s[38:39], s[38:39], 2
	v_nop
	v_readfirstlane_b32 s13, v1
	s_mul_i32 s1, s1, s0
	s_cvt_u32_f32 s2, s2
	s_mul_hi_u32 s1, s0, s1
	s_lshl_b64 s[36:37], s[36:37], 2
	s_add_co_i32 s12, s0, s1
	s_sub_co_i32 s0, 0, s77
	s_mul_f32 s1, s13, 0x4f7ffffe
	s_mul_i32 s0, s0, s2
	s_mov_b32 s13, s3
	s_mul_hi_u32 s0, s2, s0
	s_cvt_u32_f32 s46, s1
	s_add_co_i32 s34, s2, s0
	s_sub_co_i32 s0, 0, s78
	s_lshl_b64 s[60:61], s[60:61], 2
	s_mul_i32 s0, s0, s46
	s_lshl_b64 s[58:59], s[58:59], 2
	s_mul_hi_u32 s2, s46, s0
	s_mul_u64 s[0:1], s[42:43], s[70:71]
	s_add_co_i32 s42, s46, s2
	s_lshl_b64 s[0:1], s[0:1], 2
	s_mul_u64 s[46:47], s[62:63], s[68:69]
	s_add_nc_u64 s[22:23], s[22:23], s[0:1]
	s_mul_u64 s[0:1], s[54:55], s[70:71]
	s_lshl_b64 s[54:55], s[46:47], 2
	s_lshl_b64 s[0:1], s[0:1], 2
	s_mov_b32 s43, s3
	s_add_nc_u64 s[0:1], s[0:1], s[54:55]
	s_lshl_b64 s[46:47], s[66:67], 2
	s_lshl_b64 s[54:55], s[64:65], 2
	s_add_nc_u64 s[20:21], s[20:21], s[0:1]
	s_lshl_b64 s[56:57], s[56:57], 2
	s_lshl_b64 s[52:53], s[52:53], 2
	s_mov_b32 s64, 0
	s_branch .LBB59_3
.LBB59_2:                               ;   in Loop: Header=BB59_3 Depth=1
	s_delay_alu instid0(VALU_DEP_1) | instskip(SKIP_1) | instid1(VALU_DEP_1)
	v_cvt_f32_f64_e32 v1, v[6:7]
	v_add_nc_u32_e32 v0, s80, v0
	v_cmp_le_i32_e32 vcc_lo, s7, v0
	s_or_b32 s64, vcc_lo, s64
	global_store_b32 v[4:5], v1, off
	s_wait_xcnt 0x0
	s_and_not1_b32 exec_lo, exec_lo, s64
	s_cbranch_execz .LBB59_21
.LBB59_3:                               ; =>This Loop Header: Depth=1
                                        ;     Child Loop BB59_8 Depth 2
                                        ;       Child Loop BB59_11 Depth 3
                                        ;         Child Loop BB59_14 Depth 4
                                        ;           Child Loop BB59_17 Depth 5
	v_sub_nc_u32_e32 v1, 0, v0
	s_mov_b32 s62, -1
	s_delay_alu instid0(VALU_DEP_1) | instskip(NEXT) | instid1(VALU_DEP_1)
	v_max_i32_e32 v2, v0, v1
	v_mul_u64_e32 v[4:5], s[12:13], v[2:3]
	s_delay_alu instid0(VALU_DEP_1) | instskip(NEXT) | instid1(VALU_DEP_1)
	v_mul_lo_u32 v1, v5, s76
	v_sub_nc_u32_e32 v4, v2, v1
	v_add_nc_u32_e32 v1, 1, v5
	s_delay_alu instid0(VALU_DEP_2) | instskip(NEXT) | instid1(VALU_DEP_2)
	v_cmp_le_u32_e32 vcc_lo, s76, v4
	v_dual_cndmask_b32 v5, v5, v1, vcc_lo :: v_dual_ashrrev_i32 v1, 31, v0
	v_subrev_nc_u32_e32 v6, s76, v4
	s_delay_alu instid0(VALU_DEP_1) | instskip(NEXT) | instid1(VALU_DEP_1)
	v_dual_cndmask_b32 v4, v4, v6, vcc_lo :: v_dual_add_nc_u32 v6, 1, v5
	v_cmp_le_u32_e32 vcc_lo, s76, v4
	s_delay_alu instid0(VALU_DEP_2) | instskip(NEXT) | instid1(VALU_DEP_1)
	v_dual_cndmask_b32 v4, v5, v6, vcc_lo :: v_dual_bitop2_b32 v7, s81, v1 bitop3:0x14
	v_dual_mov_b32 v5, v3 :: v_dual_bitop2_b32 v4, v4, v7 bitop3:0x14
	s_delay_alu instid0(VALU_DEP_1) | instskip(SKIP_1) | instid1(VALU_DEP_1)
	v_sub_nc_u32_e32 v8, v4, v7
	v_mul_u64_e32 v[6:7], s[42:43], v[2:3]
	v_mul_lo_u32 v6, v7, s78
	s_delay_alu instid0(VALU_DEP_3) | instskip(NEXT) | instid1(VALU_DEP_1)
	v_sub_nc_u32_e32 v4, 0, v8
	v_max_i32_e32 v4, v8, v4
	s_delay_alu instid0(VALU_DEP_1) | instskip(NEXT) | instid1(VALU_DEP_1)
	v_mul_u64_e32 v[10:11], s[34:35], v[4:5]
	v_mul_lo_u32 v5, v11, s77
	s_delay_alu instid0(VALU_DEP_1) | instskip(SKIP_1) | instid1(VALU_DEP_2)
	v_dual_sub_nc_u32 v4, v4, v5 :: v_dual_sub_nc_u32 v5, v2, v6
	v_mul_lo_u32 v6, v8, s8
	v_subrev_nc_u32_e32 v2, s77, v4
	s_delay_alu instid0(VALU_DEP_3) | instskip(SKIP_2) | instid1(VALU_DEP_1)
	v_subrev_nc_u32_e32 v9, s78, v5
	v_cmp_le_u32_e32 vcc_lo, s77, v4
	v_cmp_le_u32_e64 s0, s78, v5
	v_dual_cndmask_b32 v2, v4, v2, vcc_lo :: v_dual_cndmask_b32 v5, v5, v9, s0
	v_sub_nc_u32_e32 v4, v0, v6
	s_and_not1_b32 vcc_lo, exec_lo, s72
	s_delay_alu instid0(VALU_DEP_2) | instskip(NEXT) | instid1(VALU_DEP_3)
	v_cmp_le_u32_e64 s2, s77, v2
	v_cmp_le_u32_e64 s1, s78, v5
	s_cbranch_vccnz .LBB59_5
; %bb.4:                                ;   in Loop: Header=BB59_3 Depth=1
	v_ashrrev_i32_e32 v5, 31, v4
	s_mov_b32 s62, 0
.LBB59_5:                               ;   in Loop: Header=BB59_3 Depth=1
	v_dual_add_nc_u32 v6, 1, v7 :: v_dual_ashrrev_i32 v8, 31, v8
	s_and_not1_b32 vcc_lo, exec_lo, s62
	s_delay_alu instid0(VALU_DEP_1) | instskip(SKIP_1) | instid1(VALU_DEP_1)
	v_dual_cndmask_b32 v6, v7, v6, s0 :: v_dual_bitop2_b32 v1, s82, v1 bitop3:0x14
	v_subrev_nc_u32_e32 v7, s77, v2
	v_dual_cndmask_b32 v2, v2, v7, s2 :: v_dual_add_nc_u32 v9, 1, v6
	s_delay_alu instid0(VALU_DEP_1) | instskip(NEXT) | instid1(VALU_DEP_1)
	v_cndmask_b32_e64 v6, v6, v9, s1
	v_xor_b32_e32 v9, v6, v1
	s_delay_alu instid0(VALU_DEP_3) | instskip(SKIP_1) | instid1(VALU_DEP_2)
	v_xor_b32_e32 v2, v2, v8
	v_mov_b64_e32 v[6:7], 0
	v_dual_sub_nc_u32 v10, v9, v1 :: v_dual_sub_nc_u32 v8, v2, v8
	s_cbranch_vccnz .LBB59_19
; %bb.6:                                ;   in Loop: Header=BB59_3 Depth=1
	v_mad_nc_u64_u32 v[12:13], s40, v4, s[22:23]
	s_delay_alu instid0(VALU_DEP_2) | instskip(NEXT) | instid1(VALU_DEP_3)
	v_mul_lo_u32 v2, v10, s14
	v_mul_lo_u32 v9, v8, s15
	v_ashrrev_i32_e32 v5, 31, v4
	v_mov_b64_e32 v[6:7], 0
	s_mov_b32 s1, 0
	s_mov_b32 s2, s19
	v_mad_u32 v1, s41, v4, v13
	s_delay_alu instid0(VALU_DEP_1)
	v_mad_u32 v13, s40, v5, v1
	v_subrev_nc_u32_e32 v1, s28, v2
	v_subrev_nc_u32_e32 v2, s29, v9
	s_branch .LBB59_8
.LBB59_7:                               ;   in Loop: Header=BB59_8 Depth=2
	s_delay_alu instid0(VALU_DEP_1)
	v_add_nc_u64_e32 v[12:13], s[38:39], v[12:13]
	s_add_co_i32 s1, s1, 1
	s_add_co_i32 s2, s2, s16
	s_cmp_eq_u32 s1, s30
	s_cbranch_scc1 .LBB59_19
.LBB59_8:                               ;   Parent Loop BB59_3 Depth=1
                                        ; =>  This Loop Header: Depth=2
                                        ;       Child Loop BB59_11 Depth 3
                                        ;         Child Loop BB59_14 Depth 4
                                        ;           Child Loop BB59_17 Depth 5
	s_and_not1_b32 vcc_lo, exec_lo, s73
	s_cbranch_vccnz .LBB59_7
; %bb.9:                                ;   in Loop: Header=BB59_8 Depth=2
	s_mul_i32 s0, s1, s16
	s_delay_alu instid0(VALU_DEP_1)
	v_mov_b64_e32 v[14:15], v[12:13]
	s_add_co_i32 s0, s0, s19
	v_mov_b32_e32 v9, v1
	s_cmp_lt_i32 s0, 0
	s_mul_u64 s[62:63], s[60:61], s[2:3]
	s_cselect_b32 s66, -1, 0
	s_cmp_ge_i32 s0, s4
	s_mov_b32 s65, 0
	s_cselect_b32 s0, -1, 0
	s_add_nc_u64 s[62:63], s[20:21], s[62:63]
	s_or_b32 s66, s66, s0
	s_branch .LBB59_11
.LBB59_10:                              ;   in Loop: Header=BB59_11 Depth=3
	v_add_nc_u64_e32 v[14:15], s[36:37], v[14:15]
	v_add_nc_u32_e32 v9, s17, v9
	s_add_co_i32 s65, s65, 1
	s_delay_alu instid0(SALU_CYCLE_1)
	s_cmp_eq_u32 s65, s31
	s_cbranch_scc1 .LBB59_7
.LBB59_11:                              ;   Parent Loop BB59_3 Depth=1
                                        ;     Parent Loop BB59_8 Depth=2
                                        ; =>    This Loop Header: Depth=3
                                        ;         Child Loop BB59_14 Depth 4
                                        ;           Child Loop BB59_17 Depth 5
	s_and_not1_b32 vcc_lo, exec_lo, s74
	s_cbranch_vccnz .LBB59_10
; %bb.12:                               ;   in Loop: Header=BB59_11 Depth=3
	v_mad_nc_u64_u32 v[16:17], s58, v9, s[62:63]
	v_mad_u32 v11, s65, s17, v1
	v_mov_b64_e32 v[18:19], v[14:15]
	s_mov_b32 s67, 0
	s_delay_alu instid0(VALU_DEP_3) | instskip(NEXT) | instid1(VALU_DEP_3)
	v_mad_u32 v17, s59, v9, v17
	v_cmp_gt_i32_e32 vcc_lo, 0, v11
	v_cmp_le_i32_e64 s0, s5, v11
	v_mov_b32_e32 v11, v2
	s_or_b32 s0, vcc_lo, s0
	s_delay_alu instid0(SALU_CYCLE_1)
	s_or_b32 s68, s66, s0
	s_branch .LBB59_14
.LBB59_13:                              ;   in Loop: Header=BB59_14 Depth=4
	v_add_nc_u64_e32 v[18:19], s[46:47], v[18:19]
	v_add_nc_u32_e32 v11, s18, v11
	s_add_co_i32 s67, s67, 1
	s_delay_alu instid0(SALU_CYCLE_1)
	s_cmp_eq_u32 s67, s33
	s_cbranch_scc1 .LBB59_10
.LBB59_14:                              ;   Parent Loop BB59_3 Depth=1
                                        ;     Parent Loop BB59_8 Depth=2
                                        ;       Parent Loop BB59_11 Depth=3
                                        ; =>      This Loop Header: Depth=4
                                        ;           Child Loop BB59_17 Depth 5
	s_and_not1_b32 vcc_lo, exec_lo, s75
	s_cbranch_vccnz .LBB59_13
; %bb.15:                               ;   in Loop: Header=BB59_14 Depth=4
	v_mad_nc_u64_u32 v[20:21], s56, v11, v[16:17]
	v_mad_u32 v22, s67, s18, v2
	s_mov_b32 s69, s9
	s_delay_alu instid0(VALU_DEP_2) | instskip(NEXT) | instid1(VALU_DEP_2)
	v_mad_u32 v21, s57, v11, v21
	v_cmp_gt_i32_e32 vcc_lo, 0, v22
	v_cmp_le_i32_e64 s0, s6, v22
	v_mov_b64_e32 v[22:23], v[18:19]
	s_or_b32 s0, vcc_lo, s0
	s_delay_alu instid0(SALU_CYCLE_1)
	s_nor_b32 s0, s68, s0
	s_branch .LBB59_17
.LBB59_16:                              ;   in Loop: Header=BB59_17 Depth=5
	s_wait_xcnt 0x0
	s_or_b32 exec_lo, exec_lo, s70
	v_add_nc_u64_e32 v[22:23], s[54:55], v[22:23]
	v_add_nc_u64_e32 v[20:21], s[52:53], v[20:21]
	s_add_co_i32 s69, s69, -1
	s_delay_alu instid0(SALU_CYCLE_1)
	s_cmp_eq_u32 s69, 0
	s_cbranch_scc1 .LBB59_13
.LBB59_17:                              ;   Parent Loop BB59_3 Depth=1
                                        ;     Parent Loop BB59_8 Depth=2
                                        ;       Parent Loop BB59_11 Depth=3
                                        ;         Parent Loop BB59_14 Depth=4
                                        ; =>        This Inner Loop Header: Depth=5
	s_and_saveexec_b32 s70, s0
	s_cbranch_execz .LBB59_16
; %bb.18:                               ;   in Loop: Header=BB59_17 Depth=5
	global_load_b32 v24, v[20:21], off
	global_load_b32 v26, v[22:23], off
	s_wait_loadcnt 0x1
	v_cvt_f64_f32_e32 v[24:25], v24
	s_wait_loadcnt 0x0
	v_cvt_f64_f32_e32 v[26:27], v26
	s_delay_alu instid0(VALU_DEP_1)
	v_fmac_f64_e32 v[6:7], v[24:25], v[26:27]
	s_branch .LBB59_16
.LBB59_19:                              ;   in Loop: Header=BB59_3 Depth=1
	s_delay_alu instid0(VALU_DEP_1) | instskip(SKIP_2) | instid1(VALU_DEP_2)
	v_dual_ashrrev_i32 v11, 31, v10 :: v_dual_ashrrev_i32 v9, 31, v8
	v_mul_u64_e32 v[4:5], s[44:45], v[4:5]
	s_and_not1_b32 vcc_lo, exec_lo, s79
	v_mul_u64_e32 v[10:11], s[50:51], v[10:11]
	s_delay_alu instid0(VALU_DEP_3) | instskip(NEXT) | instid1(VALU_DEP_2)
	v_mul_u64_e32 v[8:9], s[48:49], v[8:9]
	v_lshl_add_u64 v[10:11], v[10:11], 2, s[10:11]
	s_delay_alu instid0(VALU_DEP_1) | instskip(NEXT) | instid1(VALU_DEP_1)
	v_lshl_add_u64 v[8:9], v[8:9], 2, v[10:11]
	v_lshl_add_u64 v[4:5], v[4:5], 2, v[8:9]
	s_cbranch_vccnz .LBB59_2
; %bb.20:                               ;   in Loop: Header=BB59_3 Depth=1
	global_load_b32 v1, v[4:5], off
	s_wait_loadcnt 0x0
	v_cvt_f64_f32_e32 v[8:9], v1
	s_delay_alu instid0(VALU_DEP_1) | instskip(NEXT) | instid1(VALU_DEP_1)
	v_mul_f64_e32 v[8:9], s[26:27], v[8:9]
	v_fmac_f64_e32 v[8:9], s[24:25], v[6:7]
	s_delay_alu instid0(VALU_DEP_1)
	v_mov_b64_e32 v[6:7], v[8:9]
	s_branch .LBB59_2
.LBB59_21:
	s_endpgm
	.section	.rodata,"a",@progbits
	.p2align	6, 0x0
	.amdhsa_kernel naive_conv_ab_nonpacked_fwd_ndhwc_float_double_float
		.amdhsa_group_segment_fixed_size 0
		.amdhsa_private_segment_fixed_size 0
		.amdhsa_kernarg_size 528
		.amdhsa_user_sgpr_count 2
		.amdhsa_user_sgpr_dispatch_ptr 0
		.amdhsa_user_sgpr_queue_ptr 0
		.amdhsa_user_sgpr_kernarg_segment_ptr 1
		.amdhsa_user_sgpr_dispatch_id 0
		.amdhsa_user_sgpr_kernarg_preload_length 0
		.amdhsa_user_sgpr_kernarg_preload_offset 0
		.amdhsa_user_sgpr_private_segment_size 0
		.amdhsa_wavefront_size32 1
		.amdhsa_uses_dynamic_stack 0
		.amdhsa_enable_private_segment 0
		.amdhsa_system_sgpr_workgroup_id_x 1
		.amdhsa_system_sgpr_workgroup_id_y 0
		.amdhsa_system_sgpr_workgroup_id_z 0
		.amdhsa_system_sgpr_workgroup_info 0
		.amdhsa_system_vgpr_workitem_id 0
		.amdhsa_next_free_vgpr 28
		.amdhsa_next_free_sgpr 83
		.amdhsa_named_barrier_count 0
		.amdhsa_reserve_vcc 1
		.amdhsa_float_round_mode_32 0
		.amdhsa_float_round_mode_16_64 0
		.amdhsa_float_denorm_mode_32 3
		.amdhsa_float_denorm_mode_16_64 3
		.amdhsa_fp16_overflow 0
		.amdhsa_memory_ordered 1
		.amdhsa_forward_progress 1
		.amdhsa_inst_pref_size 15
		.amdhsa_round_robin_scheduling 0
		.amdhsa_exception_fp_ieee_invalid_op 0
		.amdhsa_exception_fp_denorm_src 0
		.amdhsa_exception_fp_ieee_div_zero 0
		.amdhsa_exception_fp_ieee_overflow 0
		.amdhsa_exception_fp_ieee_underflow 0
		.amdhsa_exception_fp_ieee_inexact 0
		.amdhsa_exception_int_div_zero 0
	.end_amdhsa_kernel
	.text
.Lfunc_end59:
	.size	naive_conv_ab_nonpacked_fwd_ndhwc_float_double_float, .Lfunc_end59-naive_conv_ab_nonpacked_fwd_ndhwc_float_double_float
                                        ; -- End function
	.set naive_conv_ab_nonpacked_fwd_ndhwc_float_double_float.num_vgpr, 28
	.set naive_conv_ab_nonpacked_fwd_ndhwc_float_double_float.num_agpr, 0
	.set naive_conv_ab_nonpacked_fwd_ndhwc_float_double_float.numbered_sgpr, 83
	.set naive_conv_ab_nonpacked_fwd_ndhwc_float_double_float.num_named_barrier, 0
	.set naive_conv_ab_nonpacked_fwd_ndhwc_float_double_float.private_seg_size, 0
	.set naive_conv_ab_nonpacked_fwd_ndhwc_float_double_float.uses_vcc, 1
	.set naive_conv_ab_nonpacked_fwd_ndhwc_float_double_float.uses_flat_scratch, 0
	.set naive_conv_ab_nonpacked_fwd_ndhwc_float_double_float.has_dyn_sized_stack, 0
	.set naive_conv_ab_nonpacked_fwd_ndhwc_float_double_float.has_recursion, 0
	.set naive_conv_ab_nonpacked_fwd_ndhwc_float_double_float.has_indirect_call, 0
	.section	.AMDGPU.csdata,"",@progbits
; Kernel info:
; codeLenInByte = 1844
; TotalNumSgprs: 85
; NumVgprs: 28
; ScratchSize: 0
; MemoryBound: 0
; FloatMode: 240
; IeeeMode: 1
; LDSByteSize: 0 bytes/workgroup (compile time only)
; SGPRBlocks: 0
; VGPRBlocks: 1
; NumSGPRsForWavesPerEU: 85
; NumVGPRsForWavesPerEU: 28
; NamedBarCnt: 0
; Occupancy: 16
; WaveLimiterHint : 1
; COMPUTE_PGM_RSRC2:SCRATCH_EN: 0
; COMPUTE_PGM_RSRC2:USER_SGPR: 2
; COMPUTE_PGM_RSRC2:TRAP_HANDLER: 0
; COMPUTE_PGM_RSRC2:TGID_X_EN: 1
; COMPUTE_PGM_RSRC2:TGID_Y_EN: 0
; COMPUTE_PGM_RSRC2:TGID_Z_EN: 0
; COMPUTE_PGM_RSRC2:TIDIG_COMP_CNT: 0
	.text
	.protected	naive_conv_ab_packed_fwd_ndhwc_half_double_half ; -- Begin function naive_conv_ab_packed_fwd_ndhwc_half_double_half
	.globl	naive_conv_ab_packed_fwd_ndhwc_half_double_half
	.p2align	8
	.type	naive_conv_ab_packed_fwd_ndhwc_half_double_half,@function
naive_conv_ab_packed_fwd_ndhwc_half_double_half: ; @naive_conv_ab_packed_fwd_ndhwc_half_double_half
; %bb.0:
	s_load_b512 s[4:19], s[0:1], 0xb8
	s_bfe_u32 s2, ttmp6, 0x4000c
	s_and_b32 s3, ttmp6, 15
	s_add_co_i32 s2, s2, 1
	s_getreg_b32 s20, hwreg(HW_REG_IB_STS2, 6, 4)
	s_mul_i32 s2, ttmp9, s2
	s_mov_b32 s26, exec_lo
	s_add_co_i32 s3, s3, s2
	s_cmp_eq_u32 s20, 0
	s_cselect_b32 s20, ttmp9, s3
	s_wait_kmcnt 0x0
	s_abs_i32 s3, s10
	s_mul_i32 s56, s12, s8
	s_cvt_f32_u32 s2, s3
	s_mul_i32 s33, s56, s11
	s_delay_alu instid0(SALU_CYCLE_2) | instskip(SKIP_1) | instid1(TRANS32_DEP_1)
	v_rcp_iflag_f32_e32 v1, s2
	v_nop
	v_readfirstlane_b32 s2, v1
	s_mul_f32 s2, s2, 0x4f7ffffe
	s_delay_alu instid0(SALU_CYCLE_3) | instskip(SKIP_1) | instid1(SALU_CYCLE_2)
	s_cvt_u32_f32 s21, s2
	s_sub_co_i32 s2, 0, s3
	s_mul_i32 s2, s2, s21
	s_delay_alu instid0(SALU_CYCLE_1) | instskip(SKIP_2) | instid1(SALU_CYCLE_1)
	s_mul_hi_u32 s22, s21, s2
	s_abs_i32 s2, s20
	s_add_co_i32 s21, s21, s22
	s_mul_hi_u32 s21, s2, s21
	s_delay_alu instid0(SALU_CYCLE_1) | instskip(SKIP_2) | instid1(SALU_CYCLE_1)
	s_mul_i32 s22, s21, s3
	s_add_co_i32 s23, s21, 1
	s_sub_co_i32 s22, s2, s22
	s_sub_co_i32 s24, s22, s3
	s_cmp_ge_u32 s22, s3
	s_cselect_b32 s21, s23, s21
	s_cselect_b32 s22, s24, s22
	s_add_co_i32 s23, s21, 1
	s_cmp_ge_u32 s22, s3
	s_mul_i32 s22, s10, s7
	s_cselect_b32 s24, s23, s21
	s_abs_i32 s21, s7
	s_abs_i32 s7, s22
	s_cvt_f32_u32 s3, s21
	s_cvt_f32_u32 s23, s7
	s_delay_alu instid0(SALU_CYCLE_2) | instskip(NEXT) | instid1(SALU_CYCLE_2)
	v_rcp_iflag_f32_e32 v1, s3
	v_rcp_iflag_f32_e32 v2, s23
	s_mov_b32 s3, 0
	s_delay_alu instid0(TRANS32_DEP_2) | instskip(NEXT) | instid1(TRANS32_DEP_1)
	v_readfirstlane_b32 s25, v1
	v_readfirstlane_b32 s23, v2
	v_cmpx_gt_i32_e64 s33, v0
	s_cbranch_execz .LBB60_23
; %bb.1:
	s_ashr_i32 s28, s20, 31
	s_ashr_i32 s47, s10, 31
	s_mul_f32 s25, s25, 0x4f7ffffe
	s_xor_b32 s26, s28, s47
	s_mul_f32 s23, s23, 0x4f7ffffe
	s_xor_b32 s24, s24, s26
	s_cvt_u32_f32 s25, s25
	s_sub_co_i32 s29, s24, s26
	s_sub_co_i32 s24, 0, s21
	s_cvt_u32_f32 s23, s23
	s_mul_i32 s24, s24, s25
	s_sub_co_i32 s31, 0, s7
	s_mul_hi_u32 s26, s25, s24
	s_abs_i32 s24, s29
	s_add_co_i32 s26, s25, s26
	s_mov_b32 s25, s3
	s_mov_b32 s27, s3
	s_mul_i32 s31, s31, s23
	s_mul_u64 s[26:27], s[24:25], s[26:27]
	s_mul_hi_u32 s25, s23, s31
	s_ashr_i32 s26, s22, 31
	s_add_co_i32 s22, s23, s25
	s_mul_i32 s23, s27, s21
	s_ashr_i32 s30, s29, 31
	s_mul_i32 s29, s29, s10
	s_sub_co_i32 s23, s24, s23
	s_sub_co_i32 s50, s20, s29
	s_sub_co_i32 s20, s23, s21
	s_cmp_ge_u32 s23, s21
	s_load_b64 s[34:35], s[0:1], 0x108
	s_cselect_b32 s20, s20, s23
	s_mov_b32 s46, s10
	s_sub_co_i32 s23, s20, s21
	s_cmp_ge_u32 s20, s21
	s_mov_b32 s58, s11
	s_cselect_b32 s20, s23, s20
	s_mov_b32 s23, s3
	s_xor_b32 s24, s20, s30
	s_mul_u64 s[20:21], s[2:3], s[22:23]
	s_sub_co_i32 s52, s24, s30
	s_mul_i32 s20, s21, s7
	s_xor_b32 s37, s28, s26
	s_sub_co_i32 s2, s2, s20
	s_load_b128 s[28:31], s[0:1], 0xf8
	s_add_co_i32 s20, s21, 1
	s_sub_co_i32 s22, s2, s7
	s_cmp_ge_u32 s2, s7
	s_mov_b32 s10, s12
	s_cselect_b32 s36, s20, s21
	s_cselect_b32 s2, s22, s2
	s_add_co_i32 s38, s36, 1
	s_load_b256 s[20:27], s[0:1], 0x0
	s_cmp_ge_u32 s2, s7
	s_mov_b32 s42, s8
	s_cselect_b32 s2, s38, s36
	s_wait_kmcnt 0x0
	s_mul_i32 s36, s35, s8
	s_xor_b32 s2, s2, s37
	s_ashr_i32 s53, s52, 31
	s_ashr_i32 s59, s11, 31
	;; [unrolled: 1-line block ×3, first 2 shown]
	s_sub_co_i32 s54, s2, s37
	s_mul_u64 s[46:47], s[52:53], s[46:47]
	s_ashr_i32 s37, s36, 31
	s_ashr_i32 s51, s50, 31
	s_mul_u64 s[58:59], s[10:11], s[58:59]
	s_ashr_i32 s55, s54, 31
	s_ashr_i32 s43, s8, 31
	s_add_nc_u64 s[62:63], s[46:47], s[50:51]
	s_mul_u64 s[58:59], s[58:59], s[36:37]
	s_mul_i32 s64, s35, s9
	s_mul_u64 s[48:49], s[54:55], s[42:43]
	s_mul_u64 s[58:59], s[58:59], s[62:63]
	s_ashr_i32 s39, s4, 31
	s_ashr_i32 s41, s5, 31
	;; [unrolled: 1-line block ×8, first 2 shown]
	s_lshl_b64 s[58:59], s[58:59], 1
	s_lshl_b64 s[48:49], s[48:49], 1
	s_cmp_lt_i32 s30, 1
	s_mul_i32 s2, s50, s13
	s_cselect_b32 s11, -1, 0
	s_sub_co_i32 s19, s2, s19
	s_cmp_gt_i32 s31, 0
	v_cmp_neq_f64_e64 s2, s[24:25], 1.0
	s_cselect_b32 s42, -1, 0
	s_cmp_gt_i32 s34, 0
	v_cmp_neq_f64_e64 s13, s[26:27], 0
	s_cselect_b32 s66, -1, 0
	s_cmp_gt_i32 s9, 0
	s_load_b32 s57, s[0:1], 0x11c
	s_cselect_b32 s67, -1, 0
	s_abs_i32 s68, s8
	s_wait_xcnt 0x0
	s_load_b64 s[0:1], s[0:1], 0x20
	s_cvt_f32_u32 s38, s68
	s_abs_i32 s69, s12
	s_mov_b32 s40, s5
	s_abs_i32 s70, s56
	v_rcp_iflag_f32_e32 v1, s38
	s_mov_b32 s38, s4
	s_cvt_f32_u32 s4, s69
	s_mov_b32 s44, s30
	s_mov_b32 s46, s31
	s_sub_co_i32 s31, 0, s70
	s_mov_b32 s60, s9
	v_nop
	v_readfirstlane_b32 s5, v1
	v_rcp_iflag_f32_e32 v1, s4
	v_mov_b32_e32 v3, 0
	s_ashr_i32 s73, s56, 31
	s_mov_b32 s51, s3
	s_mul_f32 s4, s5, 0x4f7ffffe
	s_cvt_f32_u32 s5, s70
	s_wait_kmcnt 0x0
	s_and_b32 s72, s57, 0xffff
	v_readfirstlane_b32 s30, v1
	s_add_nc_u64 s[0:1], s[0:1], s[58:59]
	v_rcp_iflag_f32_e32 v2, s5
	s_cvt_u32_f32 s12, s4
	s_add_nc_u64 s[4:5], s[0:1], s[48:49]
	s_sub_co_i32 s0, 0, s68
	s_or_b32 s71, s2, s13
	s_mul_i32 s0, s0, s12
	s_mul_f32 s1, s30, 0x4f7ffffe
	v_nop
	v_readfirstlane_b32 s2, v2
	s_mul_hi_u32 s0, s12, s0
	s_mul_u64 s[58:59], s[34:35], s[60:61]
	s_add_co_i32 s12, s12, s0
	s_cvt_u32_f32 s0, s1
	s_mul_f32 s1, s2, 0x4f7ffffe
	s_sub_co_i32 s2, 0, s69
	v_mov_b32_e32 v1, 0x7e00
	s_mul_i32 s2, s2, s0
	s_cvt_u32_f32 s1, s1
	s_mul_hi_u32 s2, s0, s2
	s_mul_u64 s[56:57], s[58:59], s[46:47]
	s_add_co_i32 s30, s0, s2
	s_mul_i32 s0, s31, s1
	s_mov_b32 s13, s3
	s_mul_hi_u32 s0, s1, s0
	s_mov_b32 s31, s3
	s_add_co_i32 s50, s1, s0
	s_mul_u64 s[0:1], s[60:61], s[54:55]
	s_mul_u64 s[54:55], s[6:7], s[40:41]
	s_lshl_b64 s[0:1], s[0:1], 1
	s_lshl_b64 s[58:59], s[58:59], 1
	s_add_nc_u64 s[20:21], s[20:21], s[0:1]
	s_mul_u64 s[0:1], s[54:55], s[38:39]
	s_mul_u64 s[54:55], s[56:57], s[44:45]
	;; [unrolled: 1-line block ×3, first 2 shown]
	s_lshl_b64 s[56:57], s[56:57], 1
	s_lshl_b64 s[52:53], s[0:1], 1
	;; [unrolled: 1-line block ×3, first 2 shown]
	s_mov_b32 s35, 0
	s_branch .LBB60_3
.LBB60_2:                               ;   in Loop: Header=BB60_3 Depth=1
	v_add_nc_u32_e32 v0, s72, v0
	s_delay_alu instid0(VALU_DEP_1)
	v_cmp_le_i32_e32 vcc_lo, s33, v0
	s_or_b32 s35, vcc_lo, s35
	s_wait_xcnt 0x0
	s_and_not1_b32 exec_lo, exec_lo, s35
	s_cbranch_execz .LBB60_23
.LBB60_3:                               ; =>This Loop Header: Depth=1
                                        ;     Child Loop BB60_8 Depth 2
                                        ;       Child Loop BB60_11 Depth 3
                                        ;         Child Loop BB60_14 Depth 4
                                        ;           Child Loop BB60_17 Depth 5
	v_sub_nc_u32_e32 v2, 0, v0
	s_mov_b32 s39, -1
	s_delay_alu instid0(VALU_DEP_1) | instskip(NEXT) | instid1(VALU_DEP_1)
	v_dual_ashrrev_i32 v8, 31, v0 :: v_dual_max_i32 v2, v0, v2
	v_mul_u64_e32 v[4:5], s[12:13], v[2:3]
	s_delay_alu instid0(VALU_DEP_1) | instskip(NEXT) | instid1(VALU_DEP_1)
	v_mul_lo_u32 v4, v5, s68
	v_dual_add_nc_u32 v6, 1, v5 :: v_dual_sub_nc_u32 v4, v2, v4
	s_delay_alu instid0(VALU_DEP_1) | instskip(NEXT) | instid1(VALU_DEP_2)
	v_cmp_le_u32_e32 vcc_lo, s68, v4
	v_cndmask_b32_e32 v5, v5, v6, vcc_lo
	v_subrev_nc_u32_e32 v7, s68, v4
	s_delay_alu instid0(VALU_DEP_1) | instskip(NEXT) | instid1(VALU_DEP_1)
	v_dual_add_nc_u32 v6, 1, v5 :: v_dual_cndmask_b32 v4, v4, v7, vcc_lo
	v_cmp_le_u32_e32 vcc_lo, s68, v4
	s_delay_alu instid0(VALU_DEP_2) | instskip(NEXT) | instid1(VALU_DEP_1)
	v_dual_cndmask_b32 v4, v5, v6, vcc_lo :: v_dual_bitop2_b32 v7, s43, v8 bitop3:0x14
	v_xor_b32_e32 v4, v4, v7
	s_delay_alu instid0(VALU_DEP_1) | instskip(NEXT) | instid1(VALU_DEP_1)
	v_dual_sub_nc_u32 v9, v4, v7 :: v_dual_mov_b32 v7, v3
	v_sub_nc_u32_e32 v4, 0, v9
	s_delay_alu instid0(VALU_DEP_1) | instskip(SKIP_1) | instid1(VALU_DEP_2)
	v_max_i32_e32 v6, v9, v4
	v_mul_u64_e32 v[4:5], s[50:51], v[2:3]
	v_mul_u64_e32 v[10:11], s[30:31], v[6:7]
	s_delay_alu instid0(VALU_DEP_2) | instskip(NEXT) | instid1(VALU_DEP_2)
	v_mul_lo_u32 v7, v5, s70
	v_mul_lo_u32 v4, v11, s69
	s_delay_alu instid0(VALU_DEP_1) | instskip(NEXT) | instid1(VALU_DEP_3)
	v_sub_nc_u32_e32 v4, v6, v4
	v_sub_nc_u32_e32 v6, v2, v7
	v_mul_lo_u32 v7, v9, s8
	s_delay_alu instid0(VALU_DEP_3) | instskip(NEXT) | instid1(VALU_DEP_3)
	v_subrev_nc_u32_e32 v2, s69, v4
	v_subrev_nc_u32_e32 v10, s70, v6
	v_cmp_le_u32_e32 vcc_lo, s69, v4
	v_cmp_le_u32_e64 s0, s70, v6
	s_delay_alu instid0(VALU_DEP_4) | instskip(NEXT) | instid1(VALU_DEP_2)
	v_cndmask_b32_e32 v2, v4, v2, vcc_lo
	v_dual_cndmask_b32 v4, v6, v10, s0 :: v_dual_sub_nc_u32 v6, v0, v7
	s_and_not1_b32 vcc_lo, exec_lo, s11
	s_delay_alu instid0(VALU_DEP_2) | instskip(NEXT) | instid1(VALU_DEP_2)
	v_cmp_le_u32_e64 s2, s69, v2
	v_cmp_le_u32_e64 s1, s70, v4
	s_cbranch_vccnz .LBB60_5
; %bb.4:                                ;   in Loop: Header=BB60_3 Depth=1
	v_ashrrev_i32_e32 v7, 31, v6
	s_mov_b32 s39, 0
.LBB60_5:                               ;   in Loop: Header=BB60_3 Depth=1
	v_add_nc_u32_e32 v4, 1, v5
	s_and_not1_b32 vcc_lo, exec_lo, s39
	s_delay_alu instid0(VALU_DEP_1) | instskip(SKIP_1) | instid1(VALU_DEP_1)
	v_dual_ashrrev_i32 v9, 31, v9 :: v_dual_cndmask_b32 v4, v5, v4, s0
	v_subrev_nc_u32_e32 v5, s69, v2
	v_dual_cndmask_b32 v2, v2, v5, s2 :: v_dual_add_nc_u32 v10, 1, v4
	s_delay_alu instid0(VALU_DEP_1) | instskip(NEXT) | instid1(VALU_DEP_2)
	v_xor_b32_e32 v2, v2, v9
	v_dual_cndmask_b32 v4, v4, v10, s1 :: v_dual_bitop2_b32 v11, s73, v8 bitop3:0x14
	s_delay_alu instid0(VALU_DEP_1) | instskip(SKIP_1) | instid1(VALU_DEP_2)
	v_dual_sub_nc_u32 v8, v2, v9 :: v_dual_bitop2_b32 v10, v4, v11 bitop3:0x14
	v_mov_b64_e32 v[4:5], 0
	v_sub_nc_u32_e32 v24, v10, v11
	s_cbranch_vccnz .LBB60_19
; %bb.6:                                ;   in Loop: Header=BB60_3 Depth=1
	v_ashrrev_i32_e32 v7, 31, v6
	s_delay_alu instid0(VALU_DEP_2) | instskip(SKIP_4) | instid1(VALU_DEP_1)
	v_mul_lo_u32 v9, v24, s14
	v_mul_lo_u32 v12, v8, s15
	s_mov_b32 s1, 0
	s_mov_b32 s2, s19
	v_lshl_add_u64 v[4:5], v[6:7], 1, s[48:49]
	v_mad_nc_u64_u32 v[10:11], s54, v4, s[22:23]
	s_delay_alu instid0(VALU_DEP_4) | instskip(NEXT) | instid1(VALU_DEP_4)
	v_subrev_nc_u32_e32 v9, s28, v9
	v_subrev_nc_u32_e32 v25, s29, v12
	s_delay_alu instid0(VALU_DEP_3) | instskip(NEXT) | instid1(VALU_DEP_1)
	v_mad_u32 v2, s55, v4, v11
	v_mad_u32 v11, s54, v5, v2
	v_mov_b64_e32 v[4:5], 0
	s_branch .LBB60_8
.LBB60_7:                               ;   in Loop: Header=BB60_8 Depth=2
	s_delay_alu instid0(VALU_DEP_1)
	v_add_nc_u64_e32 v[10:11], s[56:57], v[10:11]
	s_add_co_i32 s1, s1, 1
	s_add_co_i32 s2, s2, s16
	s_cmp_eq_u32 s1, s44
	s_cbranch_scc1 .LBB60_19
.LBB60_8:                               ;   Parent Loop BB60_3 Depth=1
                                        ; =>  This Loop Header: Depth=2
                                        ;       Child Loop BB60_11 Depth 3
                                        ;         Child Loop BB60_14 Depth 4
                                        ;           Child Loop BB60_17 Depth 5
	s_and_not1_b32 vcc_lo, exec_lo, s42
	s_cbranch_vccnz .LBB60_7
; %bb.9:                                ;   in Loop: Header=BB60_8 Depth=2
	s_mul_i32 s0, s1, s16
	s_delay_alu instid0(VALU_DEP_1)
	v_mov_b64_e32 v[12:13], v[10:11]
	s_add_co_i32 s0, s0, s19
	v_mov_b32_e32 v14, v9
	s_cmp_lt_i32 s0, 0
	s_mul_u64 s[62:63], s[40:41], s[2:3]
	s_cselect_b32 s45, -1, 0
	s_cmp_ge_i32 s0, s38
	s_mov_b32 s39, 0
	s_cselect_b32 s0, -1, 0
	s_delay_alu instid0(SALU_CYCLE_1)
	s_or_b32 s45, s45, s0
	s_branch .LBB60_11
.LBB60_10:                              ;   in Loop: Header=BB60_11 Depth=3
	v_add_nc_u64_e32 v[12:13], s[58:59], v[12:13]
	v_add_nc_u32_e32 v14, s17, v14
	s_add_co_i32 s39, s39, 1
	s_delay_alu instid0(SALU_CYCLE_1)
	s_cmp_eq_u32 s39, s46
	s_cbranch_scc1 .LBB60_7
.LBB60_11:                              ;   Parent Loop BB60_3 Depth=1
                                        ;     Parent Loop BB60_8 Depth=2
                                        ; =>    This Loop Header: Depth=3
                                        ;         Child Loop BB60_14 Depth 4
                                        ;           Child Loop BB60_17 Depth 5
	s_and_not1_b32 vcc_lo, exec_lo, s66
	s_cbranch_vccnz .LBB60_10
; %bb.12:                               ;   in Loop: Header=BB60_11 Depth=3
	v_mad_u32 v2, s39, s17, v9
	v_mov_b32_e32 v15, v3
	v_mov_b64_e32 v[18:19], v[12:13]
	s_mov_b32 s47, 0
	s_delay_alu instid0(VALU_DEP_3) | instskip(SKIP_4) | instid1(SALU_CYCLE_1)
	v_cmp_gt_i32_e32 vcc_lo, 0, v2
	v_cmp_le_i32_e64 s0, s40, v2
	v_mov_b32_e32 v2, v25
	v_add_nc_u64_e32 v[16:17], s[62:63], v[14:15]
	s_or_b32 s0, vcc_lo, s0
	s_or_b32 s74, s45, s0
	s_delay_alu instid0(VALU_DEP_1)
	v_mul_u64_e32 v[16:17], s[6:7], v[16:17]
	s_branch .LBB60_14
.LBB60_13:                              ;   in Loop: Header=BB60_14 Depth=4
	v_add_nc_u64_e32 v[18:19], s[60:61], v[18:19]
	v_add_nc_u32_e32 v2, s18, v2
	s_add_co_i32 s47, s47, 1
	s_delay_alu instid0(SALU_CYCLE_1)
	s_cmp_eq_u32 s47, s34
	s_cbranch_scc1 .LBB60_10
.LBB60_14:                              ;   Parent Loop BB60_3 Depth=1
                                        ;     Parent Loop BB60_8 Depth=2
                                        ;       Parent Loop BB60_11 Depth=3
                                        ; =>      This Loop Header: Depth=4
                                        ;           Child Loop BB60_17 Depth 5
	s_and_not1_b32 vcc_lo, exec_lo, s67
	s_cbranch_vccnz .LBB60_13
; %bb.15:                               ;   in Loop: Header=BB60_14 Depth=4
	s_delay_alu instid0(VALU_DEP_1) | instskip(SKIP_2) | instid1(VALU_DEP_2)
	v_add_nc_u64_e32 v[20:21], v[16:17], v[2:3]
	v_mad_u32 v15, s47, s18, v25
	s_mov_b32 s75, s9
	v_lshl_add_u64 v[22:23], v[20:21], 1, s[52:53]
	s_delay_alu instid0(VALU_DEP_2) | instskip(NEXT) | instid1(VALU_DEP_2)
	v_cmp_gt_i32_e32 vcc_lo, 0, v15
	v_mad_nc_u64_u32 v[20:21], s64, v22, s[20:21]
	v_cmp_le_i32_e64 s0, s6, v15
	s_or_b32 s0, vcc_lo, s0
	s_delay_alu instid0(SALU_CYCLE_1) | instskip(SKIP_1) | instid1(VALU_DEP_1)
	s_nor_b32 s0, s74, s0
	v_mad_u32 v21, s65, v22, v21
	v_mad_u32 v21, s64, v23, v21
	v_mov_b64_e32 v[22:23], v[18:19]
	s_branch .LBB60_17
.LBB60_16:                              ;   in Loop: Header=BB60_17 Depth=5
	s_wait_xcnt 0x0
	s_or_b32 exec_lo, exec_lo, s76
	s_delay_alu instid0(VALU_DEP_2) | instskip(SKIP_2) | instid1(SALU_CYCLE_1)
	v_add_nc_u64_e32 v[20:21], 2, v[20:21]
	v_add_nc_u64_e32 v[22:23], 2, v[22:23]
	s_add_co_i32 s75, s75, -1
	s_cmp_eq_u32 s75, 0
	s_cbranch_scc1 .LBB60_13
.LBB60_17:                              ;   Parent Loop BB60_3 Depth=1
                                        ;     Parent Loop BB60_8 Depth=2
                                        ;       Parent Loop BB60_11 Depth=3
                                        ;         Parent Loop BB60_14 Depth=4
                                        ; =>        This Inner Loop Header: Depth=5
	s_and_saveexec_b32 s76, s0
	s_cbranch_execz .LBB60_16
; %bb.18:                               ;   in Loop: Header=BB60_17 Depth=5
	global_load_u16 v15, v[20:21], off
	global_load_u16 v26, v[22:23], off
	s_wait_loadcnt 0x1
	v_cvt_f32_f16_e32 v15, v15
	s_wait_loadcnt 0x0
	v_cvt_f32_f16_e32 v28, v26
	s_delay_alu instid0(VALU_DEP_2) | instskip(NEXT) | instid1(VALU_DEP_2)
	v_cvt_f64_f32_e32 v[26:27], v15
	v_cvt_f64_f32_e32 v[28:29], v28
	s_delay_alu instid0(VALU_DEP_1)
	v_fmac_f64_e32 v[4:5], v[26:27], v[28:29]
	s_branch .LBB60_16
.LBB60_19:                              ;   in Loop: Header=BB60_3 Depth=1
	s_delay_alu instid0(VALU_DEP_3) | instskip(SKIP_2) | instid1(VALU_DEP_1)
	v_ashrrev_i32_e32 v9, 31, v8
	s_and_b32 vcc_lo, exec_lo, s71
	s_mov_b32 s0, -1
	v_mad_nc_i64_i32 v[8:9], v24, s10, v[8:9]
	s_delay_alu instid0(VALU_DEP_1) | instskip(NEXT) | instid1(VALU_DEP_1)
	v_mad_nc_u64_u32 v[6:7], v8, s36, v[6:7]
	v_mad_u32 v2, v9, s36, v7
	s_delay_alu instid0(VALU_DEP_1)
	v_mad_u32 v7, v8, s37, v2
	s_cbranch_vccz .LBB60_21
; %bb.20:                               ;   in Loop: Header=BB60_3 Depth=1
	s_delay_alu instid0(VALU_DEP_1) | instskip(SKIP_4) | instid1(VALU_DEP_1)
	v_lshl_add_u64 v[8:9], v[6:7], 1, s[4:5]
	s_mov_b32 s0, 0
	global_load_u16 v2, v[8:9], off
	s_wait_loadcnt 0x0
	v_cvt_f32_f16_e32 v2, v2
	v_cvt_f64_f32_e32 v[10:11], v2
	s_delay_alu instid0(VALU_DEP_1) | instskip(NEXT) | instid1(VALU_DEP_1)
	v_mul_f64_e32 v[10:11], s[26:27], v[10:11]
	v_fmac_f64_e32 v[10:11], s[24:25], v[4:5]
	s_delay_alu instid0(VALU_DEP_1) | instskip(SKIP_2) | instid1(VALU_DEP_3)
	v_and_or_b32 v2, 0x1ff, v11, v10
	v_lshrrev_b32_e32 v10, 8, v11
	v_bfe_u32 v12, v11, 20, 11
	v_cmp_ne_u32_e32 vcc_lo, 0, v2
	s_delay_alu instid0(VALU_DEP_2) | instskip(SKIP_2) | instid1(VALU_DEP_1)
	v_sub_nc_u32_e32 v13, 0x3f1, v12
	v_add_nc_u32_e32 v12, 0xfffffc10, v12
	v_cndmask_b32_e64 v2, 0, 1, vcc_lo
	v_and_or_b32 v2, 0xffe, v10, v2
	s_delay_alu instid0(VALU_DEP_4) | instskip(NEXT) | instid1(VALU_DEP_2)
	v_med3_i32 v10, v13, 0, 13
	v_or_b32_e32 v13, 0x1000, v2
	s_delay_alu instid0(VALU_DEP_1) | instskip(NEXT) | instid1(VALU_DEP_1)
	v_lshrrev_b32_e32 v14, v10, v13
	v_lshlrev_b32_e32 v10, v10, v14
	s_delay_alu instid0(VALU_DEP_1) | instskip(SKIP_3) | instid1(VALU_DEP_2)
	v_cmp_ne_u32_e32 vcc_lo, v10, v13
	v_lshl_or_b32 v13, v12, 12, v2
	v_cndmask_b32_e64 v10, 0, 1, vcc_lo
	v_cmp_gt_i32_e32 vcc_lo, 1, v12
	v_or_b32_e32 v10, v14, v10
	s_delay_alu instid0(VALU_DEP_1) | instskip(NEXT) | instid1(VALU_DEP_1)
	v_cndmask_b32_e32 v10, v13, v10, vcc_lo
	v_dual_lshrrev_b32 v10, 2, v10 :: v_dual_bitop2_b32 v13, 7, v10 bitop3:0x40
	s_delay_alu instid0(VALU_DEP_1) | instskip(SKIP_4) | instid1(VALU_DEP_2)
	v_cmp_lt_i32_e32 vcc_lo, 5, v13
	v_cndmask_b32_e64 v14, 0, 1, vcc_lo
	v_cmp_eq_u32_e32 vcc_lo, 3, v13
	v_cndmask_b32_e64 v13, 0, 1, vcc_lo
	v_cmp_ne_u32_e32 vcc_lo, 0, v2
	v_or_b32_e32 v13, v13, v14
	v_cndmask_b32_e32 v2, 0x7c00, v1, vcc_lo
	v_cmp_gt_i32_e32 vcc_lo, 31, v12
	s_delay_alu instid0(VALU_DEP_3) | instskip(NEXT) | instid1(VALU_DEP_1)
	v_add_nc_u32_e32 v10, v10, v13
	v_cndmask_b32_e32 v10, 0x7c00, v10, vcc_lo
	v_cmp_eq_u32_e32 vcc_lo, 0x40f, v12
	s_delay_alu instid0(VALU_DEP_2) | instskip(NEXT) | instid1(VALU_DEP_1)
	v_dual_cndmask_b32 v2, v10, v2, vcc_lo :: v_dual_lshrrev_b32 v10, 16, v11
	v_and_or_b32 v2, 0x8000, v10, v2
	global_store_b16 v[8:9], v2, off
.LBB60_21:                              ;   in Loop: Header=BB60_3 Depth=1
	s_and_not1_b32 vcc_lo, exec_lo, s0
	s_cbranch_vccnz .LBB60_2
; %bb.22:                               ;   in Loop: Header=BB60_3 Depth=1
	s_wait_xcnt 0x0
	v_and_or_b32 v2, 0x1ff, v5, v4
	v_lshrrev_b32_e32 v4, 8, v5
	v_bfe_u32 v8, v5, 20, 11
	v_lshrrev_b32_e32 v5, 16, v5
	s_delay_alu instid0(VALU_DEP_4) | instskip(NEXT) | instid1(VALU_DEP_3)
	v_cmp_ne_u32_e32 vcc_lo, 0, v2
	v_sub_nc_u32_e32 v9, 0x3f1, v8
	v_add_nc_u32_e32 v8, 0xfffffc10, v8
	v_cndmask_b32_e64 v2, 0, 1, vcc_lo
	s_delay_alu instid0(VALU_DEP_1) | instskip(NEXT) | instid1(VALU_DEP_4)
	v_and_or_b32 v2, 0xffe, v4, v2
	v_med3_i32 v4, v9, 0, 13
	s_delay_alu instid0(VALU_DEP_2) | instskip(NEXT) | instid1(VALU_DEP_1)
	v_or_b32_e32 v9, 0x1000, v2
	v_lshrrev_b32_e32 v10, v4, v9
	s_delay_alu instid0(VALU_DEP_1) | instskip(NEXT) | instid1(VALU_DEP_1)
	v_lshlrev_b32_e32 v4, v4, v10
	v_cmp_ne_u32_e32 vcc_lo, v4, v9
	v_lshl_or_b32 v9, v8, 12, v2
	v_cndmask_b32_e64 v4, 0, 1, vcc_lo
	v_cmp_gt_i32_e32 vcc_lo, 1, v8
	s_delay_alu instid0(VALU_DEP_2) | instskip(NEXT) | instid1(VALU_DEP_1)
	v_or_b32_e32 v4, v10, v4
	v_cndmask_b32_e32 v4, v9, v4, vcc_lo
	s_delay_alu instid0(VALU_DEP_1) | instskip(NEXT) | instid1(VALU_DEP_1)
	v_dual_lshrrev_b32 v4, 2, v4 :: v_dual_bitop2_b32 v9, 7, v4 bitop3:0x40
	v_cmp_lt_i32_e32 vcc_lo, 5, v9
	v_cndmask_b32_e64 v10, 0, 1, vcc_lo
	v_cmp_eq_u32_e32 vcc_lo, 3, v9
	v_cndmask_b32_e64 v9, 0, 1, vcc_lo
	v_cmp_ne_u32_e32 vcc_lo, 0, v2
	s_delay_alu instid0(VALU_DEP_2) | instskip(SKIP_2) | instid1(VALU_DEP_3)
	v_or_b32_e32 v9, v9, v10
	v_cndmask_b32_e32 v2, 0x7c00, v1, vcc_lo
	v_cmp_gt_i32_e32 vcc_lo, 31, v8
	v_add_nc_u32_e32 v4, v4, v9
	s_delay_alu instid0(VALU_DEP_1) | instskip(SKIP_1) | instid1(VALU_DEP_2)
	v_cndmask_b32_e32 v4, 0x7c00, v4, vcc_lo
	v_cmp_eq_u32_e32 vcc_lo, 0x40f, v8
	v_cndmask_b32_e32 v2, v4, v2, vcc_lo
	s_delay_alu instid0(VALU_DEP_1)
	v_and_or_b32 v2, 0x8000, v5, v2
	v_lshl_add_u64 v[4:5], v[6:7], 1, s[4:5]
	global_store_b16 v[4:5], v2, off
	s_branch .LBB60_2
.LBB60_23:
	s_endpgm
	.section	.rodata,"a",@progbits
	.p2align	6, 0x0
	.amdhsa_kernel naive_conv_ab_packed_fwd_ndhwc_half_double_half
		.amdhsa_group_segment_fixed_size 0
		.amdhsa_private_segment_fixed_size 0
		.amdhsa_kernarg_size 528
		.amdhsa_user_sgpr_count 2
		.amdhsa_user_sgpr_dispatch_ptr 0
		.amdhsa_user_sgpr_queue_ptr 0
		.amdhsa_user_sgpr_kernarg_segment_ptr 1
		.amdhsa_user_sgpr_dispatch_id 0
		.amdhsa_user_sgpr_kernarg_preload_length 0
		.amdhsa_user_sgpr_kernarg_preload_offset 0
		.amdhsa_user_sgpr_private_segment_size 0
		.amdhsa_wavefront_size32 1
		.amdhsa_uses_dynamic_stack 0
		.amdhsa_enable_private_segment 0
		.amdhsa_system_sgpr_workgroup_id_x 1
		.amdhsa_system_sgpr_workgroup_id_y 0
		.amdhsa_system_sgpr_workgroup_id_z 0
		.amdhsa_system_sgpr_workgroup_info 0
		.amdhsa_system_vgpr_workitem_id 0
		.amdhsa_next_free_vgpr 30
		.amdhsa_next_free_sgpr 77
		.amdhsa_named_barrier_count 0
		.amdhsa_reserve_vcc 1
		.amdhsa_float_round_mode_32 0
		.amdhsa_float_round_mode_16_64 0
		.amdhsa_float_denorm_mode_32 3
		.amdhsa_float_denorm_mode_16_64 3
		.amdhsa_fp16_overflow 0
		.amdhsa_memory_ordered 1
		.amdhsa_forward_progress 1
		.amdhsa_inst_pref_size 20
		.amdhsa_round_robin_scheduling 0
		.amdhsa_exception_fp_ieee_invalid_op 0
		.amdhsa_exception_fp_denorm_src 0
		.amdhsa_exception_fp_ieee_div_zero 0
		.amdhsa_exception_fp_ieee_overflow 0
		.amdhsa_exception_fp_ieee_underflow 0
		.amdhsa_exception_fp_ieee_inexact 0
		.amdhsa_exception_int_div_zero 0
	.end_amdhsa_kernel
	.text
.Lfunc_end60:
	.size	naive_conv_ab_packed_fwd_ndhwc_half_double_half, .Lfunc_end60-naive_conv_ab_packed_fwd_ndhwc_half_double_half
                                        ; -- End function
	.set naive_conv_ab_packed_fwd_ndhwc_half_double_half.num_vgpr, 30
	.set naive_conv_ab_packed_fwd_ndhwc_half_double_half.num_agpr, 0
	.set naive_conv_ab_packed_fwd_ndhwc_half_double_half.numbered_sgpr, 77
	.set naive_conv_ab_packed_fwd_ndhwc_half_double_half.num_named_barrier, 0
	.set naive_conv_ab_packed_fwd_ndhwc_half_double_half.private_seg_size, 0
	.set naive_conv_ab_packed_fwd_ndhwc_half_double_half.uses_vcc, 1
	.set naive_conv_ab_packed_fwd_ndhwc_half_double_half.uses_flat_scratch, 0
	.set naive_conv_ab_packed_fwd_ndhwc_half_double_half.has_dyn_sized_stack, 0
	.set naive_conv_ab_packed_fwd_ndhwc_half_double_half.has_recursion, 0
	.set naive_conv_ab_packed_fwd_ndhwc_half_double_half.has_indirect_call, 0
	.section	.AMDGPU.csdata,"",@progbits
; Kernel info:
; codeLenInByte = 2480
; TotalNumSgprs: 79
; NumVgprs: 30
; ScratchSize: 0
; MemoryBound: 0
; FloatMode: 240
; IeeeMode: 1
; LDSByteSize: 0 bytes/workgroup (compile time only)
; SGPRBlocks: 0
; VGPRBlocks: 1
; NumSGPRsForWavesPerEU: 79
; NumVGPRsForWavesPerEU: 30
; NamedBarCnt: 0
; Occupancy: 16
; WaveLimiterHint : 1
; COMPUTE_PGM_RSRC2:SCRATCH_EN: 0
; COMPUTE_PGM_RSRC2:USER_SGPR: 2
; COMPUTE_PGM_RSRC2:TRAP_HANDLER: 0
; COMPUTE_PGM_RSRC2:TGID_X_EN: 1
; COMPUTE_PGM_RSRC2:TGID_Y_EN: 0
; COMPUTE_PGM_RSRC2:TGID_Z_EN: 0
; COMPUTE_PGM_RSRC2:TIDIG_COMP_CNT: 0
	.text
	.protected	naive_conv_ab_nonpacked_fwd_ndhwc_half_double_half ; -- Begin function naive_conv_ab_nonpacked_fwd_ndhwc_half_double_half
	.globl	naive_conv_ab_nonpacked_fwd_ndhwc_half_double_half
	.p2align	8
	.type	naive_conv_ab_nonpacked_fwd_ndhwc_half_double_half,@function
naive_conv_ab_nonpacked_fwd_ndhwc_half_double_half: ; @naive_conv_ab_nonpacked_fwd_ndhwc_half_double_half
; %bb.0:
	s_load_b512 s[4:19], s[0:1], 0xb8
	s_bfe_u32 s2, ttmp6, 0x4000c
	s_and_b32 s3, ttmp6, 15
	s_add_co_i32 s2, s2, 1
	s_getreg_b32 s20, hwreg(HW_REG_IB_STS2, 6, 4)
	s_mul_i32 s2, ttmp9, s2
	s_mov_b32 s25, exec_lo
	s_add_co_i32 s3, s3, s2
	s_cmp_eq_u32 s20, 0
	s_cselect_b32 s20, ttmp9, s3
	s_wait_kmcnt 0x0
	s_abs_i32 s3, s10
	s_mul_i32 s82, s12, s8
	s_cvt_f32_u32 s2, s3
	s_delay_alu instid0(SALU_CYCLE_3) | instskip(SKIP_1) | instid1(TRANS32_DEP_1)
	v_rcp_iflag_f32_e32 v1, s2
	v_nop
	v_readfirstlane_b32 s2, v1
	s_mul_f32 s2, s2, 0x4f7ffffe
	s_delay_alu instid0(SALU_CYCLE_3) | instskip(SKIP_1) | instid1(SALU_CYCLE_2)
	s_cvt_u32_f32 s21, s2
	s_sub_co_i32 s2, 0, s3
	s_mul_i32 s2, s2, s21
	s_delay_alu instid0(SALU_CYCLE_1) | instskip(SKIP_2) | instid1(SALU_CYCLE_1)
	s_mul_hi_u32 s22, s21, s2
	s_abs_i32 s2, s20
	s_add_co_i32 s21, s21, s22
	s_mul_hi_u32 s21, s2, s21
	s_delay_alu instid0(SALU_CYCLE_1) | instskip(SKIP_2) | instid1(SALU_CYCLE_1)
	s_mul_i32 s22, s21, s3
	s_add_co_i32 s23, s21, 1
	s_sub_co_i32 s22, s2, s22
	s_sub_co_i32 s24, s22, s3
	s_cmp_ge_u32 s22, s3
	s_cselect_b32 s21, s23, s21
	s_cselect_b32 s22, s24, s22
	s_add_co_i32 s23, s21, 1
	s_cmp_ge_u32 s22, s3
	s_mul_i32 s22, s10, s7
	s_cselect_b32 s23, s23, s21
	s_abs_i32 s21, s7
	s_abs_i32 s33, s22
	s_cvt_f32_u32 s3, s21
	s_cvt_f32_u32 s7, s33
	s_delay_alu instid0(SALU_CYCLE_2) | instskip(NEXT) | instid1(SALU_CYCLE_2)
	v_rcp_iflag_f32_e32 v1, s3
	v_rcp_iflag_f32_e32 v2, s7
	s_mul_i32 s7, s82, s11
	s_mov_b32 s3, 0
	s_delay_alu instid0(TRANS32_DEP_2) | instskip(NEXT) | instid1(TRANS32_DEP_1)
	v_readfirstlane_b32 s24, v1
	v_readfirstlane_b32 s11, v2
	v_cmpx_gt_i32_e64 s7, v0
	s_cbranch_execz .LBB61_23
; %bb.1:
	s_mul_f32 s24, s24, 0x4f7ffffe
	s_ashr_i32 s56, s20, 31
	s_ashr_i32 s25, s10, 31
	s_mul_f32 s11, s11, 0x4f7ffffe
	s_cvt_u32_f32 s26, s24
	s_xor_b32 s25, s56, s25
	s_sub_co_i32 s24, 0, s21
	s_xor_b32 s23, s23, s25
	s_mul_i32 s24, s24, s26
	s_cvt_u32_f32 s11, s11
	s_sub_co_i32 s23, s23, s25
	s_mul_hi_u32 s25, s26, s24
	s_sub_co_i32 s28, 0, s33
	s_abs_i32 s24, s23
	s_add_co_i32 s26, s26, s25
	s_mov_b32 s25, s3
	s_mov_b32 s27, s3
	s_mul_i32 s28, s28, s11
	s_mul_u64 s[26:27], s[24:25], s[26:27]
	s_mul_hi_u32 s25, s11, s28
	s_ashr_i32 s26, s22, 31
	s_add_co_i32 s22, s11, s25
	s_mul_i32 s11, s27, s21
	s_ashr_i32 s57, s23, 31
	s_mul_i32 s23, s23, s10
	s_sub_co_i32 s11, s24, s11
	s_sub_co_i32 s10, s20, s23
	;; [unrolled: 1-line block ×3, first 2 shown]
	s_cmp_ge_u32 s11, s21
	s_mov_b32 s23, s3
	s_cselect_b32 s11, s20, s11
	s_mul_u64 s[34:35], s[2:3], s[22:23]
	s_sub_co_i32 s20, s11, s21
	s_cmp_ge_u32 s11, s21
	s_load_b512 s[36:51], s[0:1], 0x68
	s_cselect_b32 s11, s20, s11
	s_xor_b32 s56, s56, s26
	s_xor_b32 s11, s11, s57
	s_load_b256 s[20:27], s[0:1], 0x0
	s_sub_co_i32 s68, s11, s57
	s_mul_i32 s11, s35, s33
	s_clause 0x1
	s_load_b128 s[28:31], s[0:1], 0xf8
	s_load_b128 s[52:55], s[0:1], 0xa8
	s_sub_co_i32 s2, s2, s11
	s_add_co_i32 s11, s35, 1
	s_sub_co_i32 s34, s2, s33
	s_cmp_ge_u32 s2, s33
	v_dual_mov_b32 v3, 0 :: v_dual_mov_b32 v20, 0x7e00
	s_cselect_b32 s11, s11, s35
	s_cselect_b32 s2, s34, s2
	s_add_co_i32 s34, s11, 1
	s_cmp_ge_u32 s2, s33
	s_load_b32 s33, s[0:1], 0x108
	s_cselect_b32 s2, s34, s11
	s_ashr_i32 s69, s68, 31
	s_xor_b32 s2, s2, s56
	s_ashr_i32 s11, s10, 31
	s_sub_co_i32 s70, s2, s56
	s_wait_kmcnt 0x0
	v_cmp_neq_f64_e64 s2, s[24:25], 1.0
	s_ashr_i32 s71, s70, 31
	v_cmp_neq_f64_e64 s80, s[26:27], 0
	s_mul_u64 s[54:55], s[54:55], s[68:69]
	s_mul_u64 s[52:53], s[52:53], s[10:11]
	s_mul_u64 s[46:47], s[46:47], s[70:71]
	s_load_b64 s[34:35], s[0:1], 0x20
	s_lshl_b64 s[54:55], s[54:55], 1
	s_lshl_b64 s[78:79], s[52:53], 1
	;; [unrolled: 1-line block ×3, first 2 shown]
	s_cmp_lt_i32 s30, 1
	s_mul_i32 s10, s10, s13
	s_cselect_b32 s72, -1, 0
	s_sub_co_i32 s19, s10, s19
	s_cmp_gt_i32 s31, 0
	s_load_b32 s13, s[0:1], 0x11c
	s_cselect_b32 s73, -1, 0
	s_cmp_gt_i32 s33, 0
	s_cselect_b32 s74, -1, 0
	s_cmp_gt_i32 s9, 0
	s_cselect_b32 s75, -1, 0
	s_abs_i32 s76, s8
	s_abs_i32 s77, s12
	s_cvt_f32_u32 s10, s76
	s_cvt_f32_u32 s12, s77
	s_ashr_i32 s81, s8, 31
	s_lshl_b64 s[40:41], s[40:41], 1
	v_rcp_iflag_f32_e32 v1, s10
	s_wait_kmcnt 0x0
	s_add_nc_u64 s[10:11], s[34:35], s[54:55]
	s_load_b512 s[52:67], s[0:1], 0x28
	s_wait_xcnt 0x0
	s_add_nc_u64 s[0:1], s[10:11], s[78:79]
	v_rcp_iflag_f32_e32 v2, s12
	s_abs_i32 s78, s82
	s_add_nc_u64 s[10:11], s[0:1], s[46:47]
	v_nop
	v_readfirstlane_b32 s12, v1
	s_cvt_f32_u32 s0, s78
	s_or_b32 s79, s2, s80
	s_and_b32 s80, s13, 0xffff
	v_readfirstlane_b32 s2, v2
	s_mul_f32 s1, s12, 0x4f7ffffe
	v_rcp_iflag_f32_e32 v1, s0
	s_mov_b32 s35, s3
	s_ashr_i32 s82, s82, 31
	s_cvt_u32_f32 s0, s1
	s_sub_co_i32 s1, 0, s76
	s_mul_f32 s2, s2, 0x4f7ffffe
	s_lshl_b64 s[38:39], s[38:39], 1
	v_nop
	v_readfirstlane_b32 s13, v1
	s_mul_i32 s1, s1, s0
	s_cvt_u32_f32 s2, s2
	s_mul_hi_u32 s1, s0, s1
	s_lshl_b64 s[36:37], s[36:37], 1
	s_add_co_i32 s12, s0, s1
	s_sub_co_i32 s0, 0, s77
	s_mul_f32 s1, s13, 0x4f7ffffe
	s_mul_i32 s0, s0, s2
	s_mov_b32 s13, s3
	s_mul_hi_u32 s0, s2, s0
	s_cvt_u32_f32 s46, s1
	s_add_co_i32 s34, s2, s0
	s_sub_co_i32 s0, 0, s78
	s_wait_kmcnt 0x0
	s_lshl_b64 s[60:61], s[60:61], 1
	s_mul_i32 s0, s0, s46
	s_lshl_b64 s[58:59], s[58:59], 1
	s_mul_hi_u32 s2, s46, s0
	s_mul_u64 s[0:1], s[42:43], s[70:71]
	s_add_co_i32 s42, s46, s2
	s_lshl_b64 s[0:1], s[0:1], 1
	s_mul_u64 s[46:47], s[62:63], s[68:69]
	s_add_nc_u64 s[22:23], s[22:23], s[0:1]
	s_mul_u64 s[0:1], s[54:55], s[70:71]
	s_lshl_b64 s[54:55], s[46:47], 1
	s_lshl_b64 s[0:1], s[0:1], 1
	s_mov_b32 s43, s3
	s_add_nc_u64 s[0:1], s[0:1], s[54:55]
	s_lshl_b64 s[46:47], s[66:67], 1
	s_lshl_b64 s[54:55], s[64:65], 1
	s_add_nc_u64 s[20:21], s[20:21], s[0:1]
	s_lshl_b64 s[56:57], s[56:57], 1
	s_lshl_b64 s[52:53], s[52:53], 1
	s_mov_b32 s64, 0
	s_branch .LBB61_3
.LBB61_2:                               ;   in Loop: Header=BB61_3 Depth=1
	v_add_nc_u32_e32 v0, s80, v0
	s_delay_alu instid0(VALU_DEP_1)
	v_cmp_le_i32_e32 vcc_lo, s7, v0
	s_or_b32 s64, vcc_lo, s64
	s_wait_xcnt 0x0
	s_and_not1_b32 exec_lo, exec_lo, s64
	s_cbranch_execz .LBB61_23
.LBB61_3:                               ; =>This Loop Header: Depth=1
                                        ;     Child Loop BB61_8 Depth 2
                                        ;       Child Loop BB61_11 Depth 3
                                        ;         Child Loop BB61_14 Depth 4
                                        ;           Child Loop BB61_17 Depth 5
	v_sub_nc_u32_e32 v1, 0, v0
	s_mov_b32 s62, -1
	v_dual_mov_b32 v9, v3 :: v_dual_ashrrev_i32 v6, 31, v0
	s_delay_alu instid0(VALU_DEP_2) | instskip(NEXT) | instid1(VALU_DEP_1)
	v_max_i32_e32 v2, v0, v1
	v_mul_u64_e32 v[4:5], s[12:13], v[2:3]
	s_delay_alu instid0(VALU_DEP_1) | instskip(SKIP_1) | instid1(VALU_DEP_2)
	v_mul_lo_u32 v1, v5, s76
	v_add_nc_u32_e32 v4, 1, v5
	v_sub_nc_u32_e32 v1, v2, v1
	s_delay_alu instid0(VALU_DEP_1) | instskip(SKIP_1) | instid1(VALU_DEP_4)
	v_subrev_nc_u32_e32 v7, s76, v1
	v_cmp_le_u32_e32 vcc_lo, s76, v1
	v_cndmask_b32_e32 v4, v5, v4, vcc_lo
	s_delay_alu instid0(VALU_DEP_1) | instskip(NEXT) | instid1(VALU_DEP_1)
	v_dual_cndmask_b32 v1, v1, v7, vcc_lo :: v_dual_add_nc_u32 v5, 1, v4
	v_cmp_le_u32_e32 vcc_lo, s76, v1
	s_delay_alu instid0(VALU_DEP_2) | instskip(SKIP_1) | instid1(VALU_DEP_2)
	v_dual_cndmask_b32 v1, v4, v5, vcc_lo :: v_dual_bitop2_b32 v7, s81, v6 bitop3:0x14
	v_mul_u64_e32 v[4:5], s[42:43], v[2:3]
	v_xor_b32_e32 v1, v1, v7
	s_delay_alu instid0(VALU_DEP_1) | instskip(NEXT) | instid1(VALU_DEP_3)
	v_sub_nc_u32_e32 v7, v1, v7
	v_mul_lo_u32 v4, v5, s78
	s_delay_alu instid0(VALU_DEP_1) | instskip(NEXT) | instid1(VALU_DEP_1)
	v_dual_sub_nc_u32 v1, 0, v7 :: v_dual_sub_nc_u32 v2, v2, v4
	v_max_i32_e32 v8, v7, v1
	s_delay_alu instid0(VALU_DEP_2) | instskip(NEXT) | instid1(VALU_DEP_2)
	v_cmp_le_u32_e64 s0, s78, v2
	v_mul_u64_e32 v[10:11], s[34:35], v[8:9]
	v_subrev_nc_u32_e32 v9, s78, v2
	s_delay_alu instid0(VALU_DEP_2) | instskip(NEXT) | instid1(VALU_DEP_1)
	v_mul_lo_u32 v1, v11, s77
	v_sub_nc_u32_e32 v1, v8, v1
	v_mul_lo_u32 v8, v7, s8
	s_delay_alu instid0(VALU_DEP_2) | instskip(SKIP_1) | instid1(VALU_DEP_2)
	v_subrev_nc_u32_e32 v4, s77, v1
	v_cmp_le_u32_e32 vcc_lo, s77, v1
	v_dual_cndmask_b32 v4, v1, v4, vcc_lo :: v_dual_cndmask_b32 v1, v2, v9, s0
	s_delay_alu instid0(VALU_DEP_4) | instskip(SKIP_1) | instid1(VALU_DEP_2)
	v_sub_nc_u32_e32 v2, v0, v8
	s_and_not1_b32 vcc_lo, exec_lo, s72
	v_cmp_le_u32_e64 s2, s77, v4
	s_delay_alu instid0(VALU_DEP_3)
	v_cmp_le_u32_e64 s1, s78, v1
                                        ; implicit-def: $vgpr1
	s_cbranch_vccnz .LBB61_5
; %bb.4:                                ;   in Loop: Header=BB61_3 Depth=1
	v_ashrrev_i32_e32 v1, 31, v2
	s_mov_b32 s62, 0
.LBB61_5:                               ;   in Loop: Header=BB61_3 Depth=1
	v_add_nc_u32_e32 v8, 1, v5
	s_and_not1_b32 vcc_lo, exec_lo, s62
	s_delay_alu instid0(VALU_DEP_1) | instskip(SKIP_1) | instid1(VALU_DEP_1)
	v_dual_ashrrev_i32 v7, 31, v7 :: v_dual_cndmask_b32 v5, v5, v8, s0
	v_subrev_nc_u32_e32 v8, s77, v4
	v_dual_add_nc_u32 v9, 1, v5 :: v_dual_cndmask_b32 v4, v4, v8, s2
	s_delay_alu instid0(VALU_DEP_1) | instskip(NEXT) | instid1(VALU_DEP_2)
	v_dual_cndmask_b32 v5, v5, v9, s1 :: v_dual_bitop2_b32 v8, s82, v6 bitop3:0x14
	v_xor_b32_e32 v6, v4, v7
	s_delay_alu instid0(VALU_DEP_1) | instskip(SKIP_1) | instid1(VALU_DEP_2)
	v_dual_sub_nc_u32 v6, v6, v7 :: v_dual_bitop2_b32 v9, v5, v8 bitop3:0x14
	v_mov_b64_e32 v[4:5], 0
	v_sub_nc_u32_e32 v21, v9, v8
	s_cbranch_vccnz .LBB61_19
; %bb.6:                                ;   in Loop: Header=BB61_3 Depth=1
	v_mad_nc_u64_u32 v[8:9], s40, v2, s[22:23]
	s_delay_alu instid0(VALU_DEP_2) | instskip(SKIP_4) | instid1(VALU_DEP_4)
	v_mul_lo_u32 v7, v21, s14
	v_mul_lo_u32 v10, v6, s15
	v_ashrrev_i32_e32 v1, 31, v2
	s_mov_b32 s1, 0
	s_mov_b32 s2, s19
	v_mad_u32 v4, s41, v2, v9
	s_delay_alu instid0(VALU_DEP_4) | instskip(NEXT) | instid1(VALU_DEP_4)
	v_subrev_nc_u32_e32 v7, s28, v7
	v_subrev_nc_u32_e32 v22, s29, v10
	s_delay_alu instid0(VALU_DEP_3)
	v_mad_u32 v9, s40, v1, v4
	v_mov_b64_e32 v[4:5], 0
	s_branch .LBB61_8
.LBB61_7:                               ;   in Loop: Header=BB61_8 Depth=2
	s_delay_alu instid0(VALU_DEP_1)
	v_add_nc_u64_e32 v[8:9], s[38:39], v[8:9]
	s_add_co_i32 s1, s1, 1
	s_add_co_i32 s2, s2, s16
	s_cmp_eq_u32 s1, s30
	s_cbranch_scc1 .LBB61_19
.LBB61_8:                               ;   Parent Loop BB61_3 Depth=1
                                        ; =>  This Loop Header: Depth=2
                                        ;       Child Loop BB61_11 Depth 3
                                        ;         Child Loop BB61_14 Depth 4
                                        ;           Child Loop BB61_17 Depth 5
	s_and_not1_b32 vcc_lo, exec_lo, s73
	s_cbranch_vccnz .LBB61_7
; %bb.9:                                ;   in Loop: Header=BB61_8 Depth=2
	s_mul_i32 s0, s1, s16
	s_delay_alu instid0(VALU_DEP_1)
	v_mov_b64_e32 v[10:11], v[8:9]
	s_add_co_i32 s0, s0, s19
	v_mov_b32_e32 v23, v7
	s_cmp_lt_i32 s0, 0
	s_mul_u64 s[62:63], s[60:61], s[2:3]
	s_cselect_b32 s66, -1, 0
	s_cmp_ge_i32 s0, s4
	s_mov_b32 s65, 0
	s_cselect_b32 s0, -1, 0
	s_add_nc_u64 s[62:63], s[20:21], s[62:63]
	s_or_b32 s66, s66, s0
	s_branch .LBB61_11
.LBB61_10:                              ;   in Loop: Header=BB61_11 Depth=3
	v_add_nc_u64_e32 v[10:11], s[36:37], v[10:11]
	v_add_nc_u32_e32 v23, s17, v23
	s_add_co_i32 s65, s65, 1
	s_delay_alu instid0(SALU_CYCLE_1)
	s_cmp_eq_u32 s65, s31
	s_cbranch_scc1 .LBB61_7
.LBB61_11:                              ;   Parent Loop BB61_3 Depth=1
                                        ;     Parent Loop BB61_8 Depth=2
                                        ; =>    This Loop Header: Depth=3
                                        ;         Child Loop BB61_14 Depth 4
                                        ;           Child Loop BB61_17 Depth 5
	s_and_not1_b32 vcc_lo, exec_lo, s74
	s_cbranch_vccnz .LBB61_10
; %bb.12:                               ;   in Loop: Header=BB61_11 Depth=3
	v_mad_nc_u64_u32 v[12:13], s58, v23, s[62:63]
	v_mad_u32 v14, s65, s17, v7
	v_mov_b32_e32 v24, v22
	s_mov_b32 s67, 0
	s_delay_alu instid0(VALU_DEP_3) | instskip(NEXT) | instid1(VALU_DEP_3)
	v_mad_u32 v13, s59, v23, v13
	v_cmp_gt_i32_e32 vcc_lo, 0, v14
	v_cmp_le_i32_e64 s0, s5, v14
	v_mov_b64_e32 v[14:15], v[10:11]
	s_or_b32 s0, vcc_lo, s0
	s_delay_alu instid0(SALU_CYCLE_1)
	s_or_b32 s68, s66, s0
	s_branch .LBB61_14
.LBB61_13:                              ;   in Loop: Header=BB61_14 Depth=4
	s_delay_alu instid0(VALU_DEP_1) | instskip(SKIP_2) | instid1(SALU_CYCLE_1)
	v_add_nc_u64_e32 v[14:15], s[46:47], v[14:15]
	v_add_nc_u32_e32 v24, s18, v24
	s_add_co_i32 s67, s67, 1
	s_cmp_eq_u32 s67, s33
	s_cbranch_scc1 .LBB61_10
.LBB61_14:                              ;   Parent Loop BB61_3 Depth=1
                                        ;     Parent Loop BB61_8 Depth=2
                                        ;       Parent Loop BB61_11 Depth=3
                                        ; =>      This Loop Header: Depth=4
                                        ;           Child Loop BB61_17 Depth 5
	s_and_not1_b32 vcc_lo, exec_lo, s75
	s_cbranch_vccnz .LBB61_13
; %bb.15:                               ;   in Loop: Header=BB61_14 Depth=4
	v_mad_nc_u64_u32 v[16:17], s56, v24, v[12:13]
	v_mad_u32 v18, s67, s18, v22
	s_mov_b32 s69, s9
	s_delay_alu instid0(VALU_DEP_2) | instskip(NEXT) | instid1(VALU_DEP_2)
	v_mad_u32 v17, s57, v24, v17
	v_cmp_gt_i32_e32 vcc_lo, 0, v18
	v_cmp_le_i32_e64 s0, s6, v18
	v_mov_b64_e32 v[18:19], v[14:15]
	s_or_b32 s0, vcc_lo, s0
	s_delay_alu instid0(SALU_CYCLE_1)
	s_nor_b32 s0, s68, s0
	s_branch .LBB61_17
.LBB61_16:                              ;   in Loop: Header=BB61_17 Depth=5
	s_wait_xcnt 0x0
	s_or_b32 exec_lo, exec_lo, s70
	v_add_nc_u64_e32 v[18:19], s[54:55], v[18:19]
	v_add_nc_u64_e32 v[16:17], s[52:53], v[16:17]
	s_add_co_i32 s69, s69, -1
	s_delay_alu instid0(SALU_CYCLE_1)
	s_cmp_eq_u32 s69, 0
	s_cbranch_scc1 .LBB61_13
.LBB61_17:                              ;   Parent Loop BB61_3 Depth=1
                                        ;     Parent Loop BB61_8 Depth=2
                                        ;       Parent Loop BB61_11 Depth=3
                                        ;         Parent Loop BB61_14 Depth=4
                                        ; =>        This Inner Loop Header: Depth=5
	s_and_saveexec_b32 s70, s0
	s_cbranch_execz .LBB61_16
; %bb.18:                               ;   in Loop: Header=BB61_17 Depth=5
	global_load_u16 v25, v[16:17], off
	global_load_u16 v26, v[18:19], off
	s_wait_loadcnt 0x1
	v_cvt_f32_f16_e32 v25, v25
	s_wait_loadcnt 0x0
	v_cvt_f32_f16_e32 v28, v26
	s_delay_alu instid0(VALU_DEP_2) | instskip(NEXT) | instid1(VALU_DEP_2)
	v_cvt_f64_f32_e32 v[26:27], v25
	v_cvt_f64_f32_e32 v[28:29], v28
	s_delay_alu instid0(VALU_DEP_1)
	v_fmac_f64_e32 v[4:5], v[26:27], v[28:29]
	s_branch .LBB61_16
.LBB61_19:                              ;   in Loop: Header=BB61_3 Depth=1
	s_delay_alu instid0(VALU_DEP_1) | instskip(SKIP_2) | instid1(VALU_DEP_1)
	v_dual_ashrrev_i32 v7, 31, v6 :: v_dual_ashrrev_i32 v8, 31, v21
	s_and_b32 vcc_lo, exec_lo, s79
	s_mov_b32 s0, -1
	v_mul_u64_e32 v[6:7], s[48:49], v[6:7]
	s_delay_alu instid0(VALU_DEP_1) | instskip(NEXT) | instid1(VALU_DEP_1)
	v_mad_nc_u64_u32 v[6:7], s50, v21, v[6:7]
	v_mad_u32 v7, s51, v21, v7
	s_delay_alu instid0(VALU_DEP_1) | instskip(NEXT) | instid1(VALU_DEP_1)
	v_mad_u32 v7, s50, v8, v7
	v_mad_nc_u64_u32 v[6:7], v2, s44, v[6:7]
	s_delay_alu instid0(VALU_DEP_1) | instskip(NEXT) | instid1(VALU_DEP_1)
	v_mad_u32 v1, v1, s44, v7
	v_mad_u32 v7, v2, s45, v1
	s_cbranch_vccz .LBB61_21
; %bb.20:                               ;   in Loop: Header=BB61_3 Depth=1
	s_delay_alu instid0(VALU_DEP_1) | instskip(SKIP_4) | instid1(VALU_DEP_1)
	v_lshl_add_u64 v[8:9], v[6:7], 1, s[10:11]
	s_mov_b32 s0, 0
	global_load_u16 v1, v[8:9], off
	s_wait_loadcnt 0x0
	v_cvt_f32_f16_e32 v1, v1
	v_cvt_f64_f32_e32 v[10:11], v1
	s_delay_alu instid0(VALU_DEP_1) | instskip(NEXT) | instid1(VALU_DEP_1)
	v_mul_f64_e32 v[10:11], s[26:27], v[10:11]
	v_fmac_f64_e32 v[10:11], s[24:25], v[4:5]
	s_delay_alu instid0(VALU_DEP_1) | instskip(SKIP_2) | instid1(VALU_DEP_3)
	v_and_or_b32 v1, 0x1ff, v11, v10
	v_lshrrev_b32_e32 v2, 8, v11
	v_bfe_u32 v10, v11, 20, 11
	v_cmp_ne_u32_e32 vcc_lo, 0, v1
	s_delay_alu instid0(VALU_DEP_2) | instskip(SKIP_2) | instid1(VALU_DEP_1)
	v_sub_nc_u32_e32 v12, 0x3f1, v10
	v_add_nc_u32_e32 v10, 0xfffffc10, v10
	v_cndmask_b32_e64 v1, 0, 1, vcc_lo
	v_and_or_b32 v1, 0xffe, v2, v1
	s_delay_alu instid0(VALU_DEP_4) | instskip(NEXT) | instid1(VALU_DEP_2)
	v_med3_i32 v2, v12, 0, 13
	v_or_b32_e32 v12, 0x1000, v1
	s_delay_alu instid0(VALU_DEP_1) | instskip(NEXT) | instid1(VALU_DEP_1)
	v_lshrrev_b32_e32 v13, v2, v12
	v_lshlrev_b32_e32 v2, v2, v13
	s_delay_alu instid0(VALU_DEP_1) | instskip(SKIP_3) | instid1(VALU_DEP_2)
	v_cmp_ne_u32_e32 vcc_lo, v2, v12
	v_lshl_or_b32 v12, v10, 12, v1
	v_cndmask_b32_e64 v2, 0, 1, vcc_lo
	v_cmp_gt_i32_e32 vcc_lo, 1, v10
	v_or_b32_e32 v2, v13, v2
	s_delay_alu instid0(VALU_DEP_1) | instskip(NEXT) | instid1(VALU_DEP_1)
	v_cndmask_b32_e32 v2, v12, v2, vcc_lo
	v_dual_lshrrev_b32 v2, 2, v2 :: v_dual_bitop2_b32 v12, 7, v2 bitop3:0x40
	s_delay_alu instid0(VALU_DEP_1) | instskip(SKIP_4) | instid1(VALU_DEP_2)
	v_cmp_lt_i32_e32 vcc_lo, 5, v12
	v_cndmask_b32_e64 v13, 0, 1, vcc_lo
	v_cmp_eq_u32_e32 vcc_lo, 3, v12
	v_cndmask_b32_e64 v12, 0, 1, vcc_lo
	v_cmp_ne_u32_e32 vcc_lo, 0, v1
	v_or_b32_e32 v12, v12, v13
	v_cndmask_b32_e32 v1, 0x7c00, v20, vcc_lo
	v_cmp_gt_i32_e32 vcc_lo, 31, v10
	s_delay_alu instid0(VALU_DEP_3) | instskip(NEXT) | instid1(VALU_DEP_1)
	v_add_nc_u32_e32 v2, v2, v12
	v_cndmask_b32_e32 v2, 0x7c00, v2, vcc_lo
	v_cmp_eq_u32_e32 vcc_lo, 0x40f, v10
	s_delay_alu instid0(VALU_DEP_2) | instskip(NEXT) | instid1(VALU_DEP_1)
	v_dual_cndmask_b32 v1, v2, v1 :: v_dual_lshrrev_b32 v2, 16, v11
	v_and_or_b32 v1, 0x8000, v2, v1
	global_store_b16 v[8:9], v1, off
.LBB61_21:                              ;   in Loop: Header=BB61_3 Depth=1
	s_and_not1_b32 vcc_lo, exec_lo, s0
	s_cbranch_vccnz .LBB61_2
; %bb.22:                               ;   in Loop: Header=BB61_3 Depth=1
	s_wait_xcnt 0x0
	v_and_or_b32 v1, 0x1ff, v5, v4
	v_lshrrev_b32_e32 v2, 8, v5
	v_bfe_u32 v4, v5, 20, 11
	v_lshrrev_b32_e32 v5, 16, v5
	s_delay_alu instid0(VALU_DEP_4) | instskip(NEXT) | instid1(VALU_DEP_3)
	v_cmp_ne_u32_e32 vcc_lo, 0, v1
	v_sub_nc_u32_e32 v8, 0x3f1, v4
	v_add_nc_u32_e32 v4, 0xfffffc10, v4
	v_cndmask_b32_e64 v1, 0, 1, vcc_lo
	s_delay_alu instid0(VALU_DEP_1) | instskip(NEXT) | instid1(VALU_DEP_4)
	v_and_or_b32 v1, 0xffe, v2, v1
	v_med3_i32 v2, v8, 0, 13
	s_delay_alu instid0(VALU_DEP_2) | instskip(NEXT) | instid1(VALU_DEP_1)
	v_or_b32_e32 v8, 0x1000, v1
	v_lshrrev_b32_e32 v9, v2, v8
	s_delay_alu instid0(VALU_DEP_1) | instskip(NEXT) | instid1(VALU_DEP_1)
	v_lshlrev_b32_e32 v2, v2, v9
	v_cmp_ne_u32_e32 vcc_lo, v2, v8
	v_lshl_or_b32 v8, v4, 12, v1
	v_cndmask_b32_e64 v2, 0, 1, vcc_lo
	v_cmp_gt_i32_e32 vcc_lo, 1, v4
	s_delay_alu instid0(VALU_DEP_2) | instskip(NEXT) | instid1(VALU_DEP_1)
	v_or_b32_e32 v2, v9, v2
	v_cndmask_b32_e32 v2, v8, v2, vcc_lo
	s_delay_alu instid0(VALU_DEP_1) | instskip(NEXT) | instid1(VALU_DEP_1)
	v_dual_lshrrev_b32 v2, 2, v2 :: v_dual_bitop2_b32 v8, 7, v2 bitop3:0x40
	v_cmp_lt_i32_e32 vcc_lo, 5, v8
	v_cndmask_b32_e64 v9, 0, 1, vcc_lo
	v_cmp_eq_u32_e32 vcc_lo, 3, v8
	v_cndmask_b32_e64 v8, 0, 1, vcc_lo
	v_cmp_ne_u32_e32 vcc_lo, 0, v1
	s_delay_alu instid0(VALU_DEP_2) | instskip(SKIP_2) | instid1(VALU_DEP_3)
	v_or_b32_e32 v8, v8, v9
	v_cndmask_b32_e32 v1, 0x7c00, v20, vcc_lo
	v_cmp_gt_i32_e32 vcc_lo, 31, v4
	v_add_nc_u32_e32 v2, v2, v8
	s_delay_alu instid0(VALU_DEP_1) | instskip(SKIP_1) | instid1(VALU_DEP_2)
	v_cndmask_b32_e32 v2, 0x7c00, v2, vcc_lo
	v_cmp_eq_u32_e32 vcc_lo, 0x40f, v4
	v_cndmask_b32_e32 v1, v2, v1, vcc_lo
	s_delay_alu instid0(VALU_DEP_1)
	v_and_or_b32 v1, 0x8000, v5, v1
	v_lshl_add_u64 v[4:5], v[6:7], 1, s[10:11]
	global_store_b16 v[4:5], v1, off
	s_branch .LBB61_2
.LBB61_23:
	s_endpgm
	.section	.rodata,"a",@progbits
	.p2align	6, 0x0
	.amdhsa_kernel naive_conv_ab_nonpacked_fwd_ndhwc_half_double_half
		.amdhsa_group_segment_fixed_size 0
		.amdhsa_private_segment_fixed_size 0
		.amdhsa_kernarg_size 528
		.amdhsa_user_sgpr_count 2
		.amdhsa_user_sgpr_dispatch_ptr 0
		.amdhsa_user_sgpr_queue_ptr 0
		.amdhsa_user_sgpr_kernarg_segment_ptr 1
		.amdhsa_user_sgpr_dispatch_id 0
		.amdhsa_user_sgpr_kernarg_preload_length 0
		.amdhsa_user_sgpr_kernarg_preload_offset 0
		.amdhsa_user_sgpr_private_segment_size 0
		.amdhsa_wavefront_size32 1
		.amdhsa_uses_dynamic_stack 0
		.amdhsa_enable_private_segment 0
		.amdhsa_system_sgpr_workgroup_id_x 1
		.amdhsa_system_sgpr_workgroup_id_y 0
		.amdhsa_system_sgpr_workgroup_id_z 0
		.amdhsa_system_sgpr_workgroup_info 0
		.amdhsa_system_vgpr_workitem_id 0
		.amdhsa_next_free_vgpr 30
		.amdhsa_next_free_sgpr 83
		.amdhsa_named_barrier_count 0
		.amdhsa_reserve_vcc 1
		.amdhsa_float_round_mode_32 0
		.amdhsa_float_round_mode_16_64 0
		.amdhsa_float_denorm_mode_32 3
		.amdhsa_float_denorm_mode_16_64 3
		.amdhsa_fp16_overflow 0
		.amdhsa_memory_ordered 1
		.amdhsa_forward_progress 1
		.amdhsa_inst_pref_size 19
		.amdhsa_round_robin_scheduling 0
		.amdhsa_exception_fp_ieee_invalid_op 0
		.amdhsa_exception_fp_denorm_src 0
		.amdhsa_exception_fp_ieee_div_zero 0
		.amdhsa_exception_fp_ieee_overflow 0
		.amdhsa_exception_fp_ieee_underflow 0
		.amdhsa_exception_fp_ieee_inexact 0
		.amdhsa_exception_int_div_zero 0
	.end_amdhsa_kernel
	.text
.Lfunc_end61:
	.size	naive_conv_ab_nonpacked_fwd_ndhwc_half_double_half, .Lfunc_end61-naive_conv_ab_nonpacked_fwd_ndhwc_half_double_half
                                        ; -- End function
	.set naive_conv_ab_nonpacked_fwd_ndhwc_half_double_half.num_vgpr, 30
	.set naive_conv_ab_nonpacked_fwd_ndhwc_half_double_half.num_agpr, 0
	.set naive_conv_ab_nonpacked_fwd_ndhwc_half_double_half.numbered_sgpr, 83
	.set naive_conv_ab_nonpacked_fwd_ndhwc_half_double_half.num_named_barrier, 0
	.set naive_conv_ab_nonpacked_fwd_ndhwc_half_double_half.private_seg_size, 0
	.set naive_conv_ab_nonpacked_fwd_ndhwc_half_double_half.uses_vcc, 1
	.set naive_conv_ab_nonpacked_fwd_ndhwc_half_double_half.uses_flat_scratch, 0
	.set naive_conv_ab_nonpacked_fwd_ndhwc_half_double_half.has_dyn_sized_stack, 0
	.set naive_conv_ab_nonpacked_fwd_ndhwc_half_double_half.has_recursion, 0
	.set naive_conv_ab_nonpacked_fwd_ndhwc_half_double_half.has_indirect_call, 0
	.section	.AMDGPU.csdata,"",@progbits
; Kernel info:
; codeLenInByte = 2432
; TotalNumSgprs: 85
; NumVgprs: 30
; ScratchSize: 0
; MemoryBound: 0
; FloatMode: 240
; IeeeMode: 1
; LDSByteSize: 0 bytes/workgroup (compile time only)
; SGPRBlocks: 0
; VGPRBlocks: 1
; NumSGPRsForWavesPerEU: 85
; NumVGPRsForWavesPerEU: 30
; NamedBarCnt: 0
; Occupancy: 16
; WaveLimiterHint : 1
; COMPUTE_PGM_RSRC2:SCRATCH_EN: 0
; COMPUTE_PGM_RSRC2:USER_SGPR: 2
; COMPUTE_PGM_RSRC2:TRAP_HANDLER: 0
; COMPUTE_PGM_RSRC2:TGID_X_EN: 1
; COMPUTE_PGM_RSRC2:TGID_Y_EN: 0
; COMPUTE_PGM_RSRC2:TGID_Z_EN: 0
; COMPUTE_PGM_RSRC2:TIDIG_COMP_CNT: 0
	.text
	.protected	naive_conv_ab_packed_fwd_ndhwc_ushort_double_ushort ; -- Begin function naive_conv_ab_packed_fwd_ndhwc_ushort_double_ushort
	.globl	naive_conv_ab_packed_fwd_ndhwc_ushort_double_ushort
	.p2align	8
	.type	naive_conv_ab_packed_fwd_ndhwc_ushort_double_ushort,@function
naive_conv_ab_packed_fwd_ndhwc_ushort_double_ushort: ; @naive_conv_ab_packed_fwd_ndhwc_ushort_double_ushort
; %bb.0:
	s_load_b512 s[4:19], s[0:1], 0xb8
	s_bfe_u32 s2, ttmp6, 0x4000c
	s_and_b32 s3, ttmp6, 15
	s_add_co_i32 s2, s2, 1
	s_getreg_b32 s20, hwreg(HW_REG_IB_STS2, 6, 4)
	s_mul_i32 s2, ttmp9, s2
	s_mov_b32 s26, exec_lo
	s_add_co_i32 s3, s3, s2
	s_cmp_eq_u32 s20, 0
	s_cselect_b32 s20, ttmp9, s3
	s_wait_kmcnt 0x0
	s_abs_i32 s3, s10
	s_mul_i32 s56, s12, s8
	s_cvt_f32_u32 s2, s3
	s_mul_i32 s33, s56, s11
	s_delay_alu instid0(SALU_CYCLE_2) | instskip(SKIP_1) | instid1(TRANS32_DEP_1)
	v_rcp_iflag_f32_e32 v1, s2
	v_nop
	v_readfirstlane_b32 s2, v1
	s_mul_f32 s2, s2, 0x4f7ffffe
	s_delay_alu instid0(SALU_CYCLE_3) | instskip(SKIP_1) | instid1(SALU_CYCLE_2)
	s_cvt_u32_f32 s21, s2
	s_sub_co_i32 s2, 0, s3
	s_mul_i32 s2, s2, s21
	s_delay_alu instid0(SALU_CYCLE_1) | instskip(SKIP_2) | instid1(SALU_CYCLE_1)
	s_mul_hi_u32 s22, s21, s2
	s_abs_i32 s2, s20
	s_add_co_i32 s21, s21, s22
	s_mul_hi_u32 s21, s2, s21
	s_delay_alu instid0(SALU_CYCLE_1) | instskip(SKIP_2) | instid1(SALU_CYCLE_1)
	s_mul_i32 s22, s21, s3
	s_add_co_i32 s23, s21, 1
	s_sub_co_i32 s22, s2, s22
	s_sub_co_i32 s24, s22, s3
	s_cmp_ge_u32 s22, s3
	s_cselect_b32 s21, s23, s21
	s_cselect_b32 s22, s24, s22
	s_add_co_i32 s23, s21, 1
	s_cmp_ge_u32 s22, s3
	s_mul_i32 s22, s10, s7
	s_cselect_b32 s24, s23, s21
	s_abs_i32 s21, s7
	s_abs_i32 s7, s22
	s_cvt_f32_u32 s3, s21
	s_cvt_f32_u32 s23, s7
	s_delay_alu instid0(SALU_CYCLE_2) | instskip(NEXT) | instid1(SALU_CYCLE_2)
	v_rcp_iflag_f32_e32 v1, s3
	v_rcp_iflag_f32_e32 v2, s23
	s_mov_b32 s3, 0
	s_delay_alu instid0(TRANS32_DEP_2) | instskip(NEXT) | instid1(TRANS32_DEP_1)
	v_readfirstlane_b32 s25, v1
	v_readfirstlane_b32 s23, v2
	v_cmpx_gt_i32_e64 s33, v0
	s_cbranch_execz .LBB62_23
; %bb.1:
	s_ashr_i32 s28, s20, 31
	s_ashr_i32 s47, s10, 31
	s_mul_f32 s25, s25, 0x4f7ffffe
	s_xor_b32 s26, s28, s47
	s_mul_f32 s23, s23, 0x4f7ffffe
	s_xor_b32 s24, s24, s26
	s_cvt_u32_f32 s25, s25
	s_sub_co_i32 s29, s24, s26
	s_sub_co_i32 s24, 0, s21
	s_cvt_u32_f32 s23, s23
	s_mul_i32 s24, s24, s25
	s_sub_co_i32 s31, 0, s7
	s_mul_hi_u32 s26, s25, s24
	s_abs_i32 s24, s29
	s_add_co_i32 s26, s25, s26
	s_mov_b32 s25, s3
	s_mov_b32 s27, s3
	s_mul_i32 s31, s31, s23
	s_mul_u64 s[26:27], s[24:25], s[26:27]
	s_mul_hi_u32 s25, s23, s31
	s_ashr_i32 s26, s22, 31
	s_add_co_i32 s22, s23, s25
	s_mul_i32 s23, s27, s21
	s_ashr_i32 s30, s29, 31
	s_mul_i32 s29, s29, s10
	s_sub_co_i32 s23, s24, s23
	s_sub_co_i32 s50, s20, s29
	;; [unrolled: 1-line block ×3, first 2 shown]
	s_cmp_ge_u32 s23, s21
	s_load_b64 s[34:35], s[0:1], 0x108
	s_cselect_b32 s20, s20, s23
	s_mov_b32 s46, s10
	s_sub_co_i32 s23, s20, s21
	s_cmp_ge_u32 s20, s21
	s_mov_b32 s58, s11
	s_cselect_b32 s20, s23, s20
	s_mov_b32 s23, s3
	s_xor_b32 s24, s20, s30
	s_mul_u64 s[20:21], s[2:3], s[22:23]
	s_sub_co_i32 s52, s24, s30
	s_mul_i32 s20, s21, s7
	s_xor_b32 s37, s28, s26
	s_sub_co_i32 s2, s2, s20
	s_load_b128 s[28:31], s[0:1], 0xf8
	s_add_co_i32 s20, s21, 1
	s_sub_co_i32 s22, s2, s7
	s_cmp_ge_u32 s2, s7
	s_mov_b32 s10, s12
	s_cselect_b32 s36, s20, s21
	s_cselect_b32 s2, s22, s2
	s_add_co_i32 s38, s36, 1
	s_load_b256 s[20:27], s[0:1], 0x0
	s_cmp_ge_u32 s2, s7
	s_mov_b32 s42, s8
	s_cselect_b32 s2, s38, s36
	s_wait_kmcnt 0x0
	s_mul_i32 s36, s35, s8
	s_xor_b32 s2, s2, s37
	s_ashr_i32 s53, s52, 31
	s_ashr_i32 s59, s11, 31
	s_ashr_i32 s11, s12, 31
	s_sub_co_i32 s54, s2, s37
	s_mul_u64 s[46:47], s[52:53], s[46:47]
	s_ashr_i32 s37, s36, 31
	s_ashr_i32 s51, s50, 31
	s_mul_u64 s[58:59], s[10:11], s[58:59]
	s_ashr_i32 s55, s54, 31
	s_ashr_i32 s43, s8, 31
	s_add_nc_u64 s[62:63], s[46:47], s[50:51]
	s_mul_u64 s[58:59], s[58:59], s[36:37]
	s_mul_i32 s64, s35, s9
	s_mul_u64 s[48:49], s[54:55], s[42:43]
	s_mul_u64 s[58:59], s[58:59], s[62:63]
	s_ashr_i32 s39, s4, 31
	s_ashr_i32 s41, s5, 31
	;; [unrolled: 1-line block ×8, first 2 shown]
	s_lshl_b64 s[58:59], s[58:59], 1
	s_lshl_b64 s[48:49], s[48:49], 1
	s_cmp_lt_i32 s30, 1
	s_mul_i32 s2, s50, s13
	s_cselect_b32 s11, -1, 0
	s_sub_co_i32 s19, s2, s19
	s_cmp_gt_i32 s31, 0
	v_cmp_neq_f64_e64 s2, s[24:25], 1.0
	s_cselect_b32 s42, -1, 0
	s_cmp_gt_i32 s34, 0
	v_cmp_neq_f64_e64 s13, s[26:27], 0
	s_cselect_b32 s66, -1, 0
	s_cmp_gt_i32 s9, 0
	s_load_b32 s57, s[0:1], 0x11c
	s_cselect_b32 s67, -1, 0
	s_abs_i32 s68, s8
	s_wait_xcnt 0x0
	s_load_b64 s[0:1], s[0:1], 0x20
	s_cvt_f32_u32 s38, s68
	s_abs_i32 s69, s12
	s_mov_b32 s40, s5
	s_abs_i32 s70, s56
	v_rcp_iflag_f32_e32 v1, s38
	s_mov_b32 s38, s4
	s_cvt_f32_u32 s4, s69
	s_mov_b32 s44, s30
	s_mov_b32 s46, s31
	s_sub_co_i32 s31, 0, s70
	s_mov_b32 s60, s9
	v_nop
	v_readfirstlane_b32 s5, v1
	v_rcp_iflag_f32_e32 v1, s4
	v_mov_b32_e32 v3, 0
	s_ashr_i32 s73, s56, 31
	s_mov_b32 s51, s3
	s_mul_f32 s4, s5, 0x4f7ffffe
	s_cvt_f32_u32 s5, s70
	s_wait_kmcnt 0x0
	s_and_b32 s72, s57, 0xffff
	v_readfirstlane_b32 s30, v1
	s_add_nc_u64 s[0:1], s[0:1], s[58:59]
	v_rcp_iflag_f32_e32 v2, s5
	s_cvt_u32_f32 s12, s4
	s_add_nc_u64 s[4:5], s[0:1], s[48:49]
	s_sub_co_i32 s0, 0, s68
	s_or_b32 s71, s2, s13
	s_mul_i32 s0, s0, s12
	s_mul_f32 s1, s30, 0x4f7ffffe
	v_nop
	v_readfirstlane_b32 s2, v2
	s_mul_hi_u32 s0, s12, s0
	s_mul_u64 s[58:59], s[34:35], s[60:61]
	s_add_co_i32 s12, s12, s0
	s_cvt_u32_f32 s0, s1
	s_mul_f32 s1, s2, 0x4f7ffffe
	s_sub_co_i32 s2, 0, s69
	s_mul_u64 s[56:57], s[58:59], s[46:47]
	s_mul_i32 s2, s2, s0
	s_cvt_u32_f32 s1, s1
	s_mul_hi_u32 s2, s0, s2
	s_mov_b32 s13, s3
	s_add_co_i32 s30, s0, s2
	s_mul_i32 s0, s31, s1
	s_mov_b32 s31, s3
	s_mul_hi_u32 s0, s1, s0
	s_lshl_b64 s[58:59], s[58:59], 1
	s_add_co_i32 s50, s1, s0
	s_mul_u64 s[0:1], s[60:61], s[54:55]
	s_mul_u64 s[54:55], s[6:7], s[40:41]
	s_lshl_b64 s[0:1], s[0:1], 1
	s_lshl_b64 s[60:61], s[60:61], 1
	s_add_nc_u64 s[20:21], s[20:21], s[0:1]
	s_mul_u64 s[0:1], s[54:55], s[38:39]
	s_mul_u64 s[54:55], s[56:57], s[44:45]
	;; [unrolled: 1-line block ×3, first 2 shown]
	s_lshl_b64 s[56:57], s[56:57], 1
	s_lshl_b64 s[52:53], s[0:1], 1
	s_mov_b32 s35, 0
	s_branch .LBB62_3
.LBB62_2:                               ;   in Loop: Header=BB62_3 Depth=1
	v_add_nc_u32_e32 v0, s72, v0
	s_delay_alu instid0(VALU_DEP_1)
	v_cmp_le_i32_e32 vcc_lo, s33, v0
	s_or_b32 s35, vcc_lo, s35
	s_wait_xcnt 0x0
	s_and_not1_b32 exec_lo, exec_lo, s35
	s_cbranch_execz .LBB62_23
.LBB62_3:                               ; =>This Loop Header: Depth=1
                                        ;     Child Loop BB62_8 Depth 2
                                        ;       Child Loop BB62_11 Depth 3
                                        ;         Child Loop BB62_14 Depth 4
                                        ;           Child Loop BB62_17 Depth 5
	v_sub_nc_u32_e32 v1, 0, v0
	s_mov_b32 s39, -1
	s_delay_alu instid0(VALU_DEP_1) | instskip(NEXT) | instid1(VALU_DEP_1)
	v_max_i32_e32 v2, v0, v1
	v_mul_u64_e32 v[4:5], s[12:13], v[2:3]
	s_delay_alu instid0(VALU_DEP_1) | instskip(NEXT) | instid1(VALU_DEP_1)
	v_mul_lo_u32 v1, v5, s68
	v_sub_nc_u32_e32 v4, v2, v1
	v_add_nc_u32_e32 v1, 1, v5
	s_delay_alu instid0(VALU_DEP_2) | instskip(NEXT) | instid1(VALU_DEP_2)
	v_cmp_le_u32_e32 vcc_lo, s68, v4
	v_dual_cndmask_b32 v5, v5, v1, vcc_lo :: v_dual_ashrrev_i32 v1, 31, v0
	v_subrev_nc_u32_e32 v6, s68, v4
	s_delay_alu instid0(VALU_DEP_1) | instskip(NEXT) | instid1(VALU_DEP_1)
	v_dual_cndmask_b32 v4, v4, v6, vcc_lo :: v_dual_add_nc_u32 v6, 1, v5
	v_cmp_le_u32_e32 vcc_lo, s68, v4
	s_delay_alu instid0(VALU_DEP_2) | instskip(NEXT) | instid1(VALU_DEP_1)
	v_dual_cndmask_b32 v4, v5, v6, vcc_lo :: v_dual_bitop2_b32 v7, s43, v1 bitop3:0x14
	v_dual_mov_b32 v5, v3 :: v_dual_bitop2_b32 v4, v4, v7 bitop3:0x14
	s_delay_alu instid0(VALU_DEP_1) | instskip(SKIP_1) | instid1(VALU_DEP_1)
	v_sub_nc_u32_e32 v8, v4, v7
	v_mul_u64_e32 v[6:7], s[50:51], v[2:3]
	v_mul_lo_u32 v6, v7, s70
	s_delay_alu instid0(VALU_DEP_3) | instskip(NEXT) | instid1(VALU_DEP_1)
	v_sub_nc_u32_e32 v4, 0, v8
	v_max_i32_e32 v4, v8, v4
	s_delay_alu instid0(VALU_DEP_1) | instskip(NEXT) | instid1(VALU_DEP_1)
	v_mul_u64_e32 v[10:11], s[30:31], v[4:5]
	v_mul_lo_u32 v5, v11, s69
	s_delay_alu instid0(VALU_DEP_1) | instskip(SKIP_1) | instid1(VALU_DEP_2)
	v_dual_sub_nc_u32 v4, v4, v5 :: v_dual_sub_nc_u32 v5, v2, v6
	v_mul_lo_u32 v6, v8, s8
	v_subrev_nc_u32_e32 v2, s69, v4
	s_delay_alu instid0(VALU_DEP_3) | instskip(SKIP_2) | instid1(VALU_DEP_1)
	v_subrev_nc_u32_e32 v9, s70, v5
	v_cmp_le_u32_e32 vcc_lo, s69, v4
	v_cmp_le_u32_e64 s0, s70, v5
	v_dual_cndmask_b32 v2, v4, v2, vcc_lo :: v_dual_cndmask_b32 v5, v5, v9, s0
	v_sub_nc_u32_e32 v4, v0, v6
	s_and_not1_b32 vcc_lo, exec_lo, s11
	s_delay_alu instid0(VALU_DEP_2) | instskip(NEXT) | instid1(VALU_DEP_3)
	v_cmp_le_u32_e64 s2, s69, v2
	v_cmp_le_u32_e64 s1, s70, v5
	s_cbranch_vccnz .LBB62_5
; %bb.4:                                ;   in Loop: Header=BB62_3 Depth=1
	v_ashrrev_i32_e32 v5, 31, v4
	s_mov_b32 s39, 0
.LBB62_5:                               ;   in Loop: Header=BB62_3 Depth=1
	v_dual_add_nc_u32 v6, 1, v7 :: v_dual_ashrrev_i32 v8, 31, v8
	s_and_not1_b32 vcc_lo, exec_lo, s39
	s_delay_alu instid0(VALU_DEP_1) | instskip(SKIP_1) | instid1(VALU_DEP_1)
	v_dual_cndmask_b32 v6, v7, v6, s0 :: v_dual_bitop2_b32 v1, s73, v1 bitop3:0x14
	v_subrev_nc_u32_e32 v7, s69, v2
	v_dual_cndmask_b32 v2, v2, v7, s2 :: v_dual_add_nc_u32 v9, 1, v6
	s_delay_alu instid0(VALU_DEP_1) | instskip(NEXT) | instid1(VALU_DEP_1)
	v_cndmask_b32_e64 v6, v6, v9, s1
	v_xor_b32_e32 v9, v6, v1
	s_delay_alu instid0(VALU_DEP_3) | instskip(SKIP_1) | instid1(VALU_DEP_2)
	v_xor_b32_e32 v2, v2, v8
	v_mov_b64_e32 v[6:7], 0
	v_dual_sub_nc_u32 v1, v9, v1 :: v_dual_sub_nc_u32 v8, v2, v8
	s_cbranch_vccnz .LBB62_19
; %bb.6:                                ;   in Loop: Header=BB62_3 Depth=1
	v_ashrrev_i32_e32 v5, 31, v4
	s_delay_alu instid0(VALU_DEP_2) | instskip(NEXT) | instid1(VALU_DEP_3)
	v_mul_lo_u32 v9, v1, s14
	v_mul_lo_u32 v12, v8, s15
	s_mov_b32 s1, 0
	s_mov_b32 s2, s19
	v_lshl_add_u64 v[6:7], v[4:5], 1, s[48:49]
	s_delay_alu instid0(VALU_DEP_1) | instskip(NEXT) | instid1(VALU_DEP_4)
	v_mad_nc_u64_u32 v[10:11], s54, v6, s[22:23]
	v_subrev_nc_u32_e32 v9, s28, v9
	s_delay_alu instid0(VALU_DEP_4) | instskip(NEXT) | instid1(VALU_DEP_3)
	v_subrev_nc_u32_e32 v24, s29, v12
	v_mad_u32 v2, s55, v6, v11
	s_delay_alu instid0(VALU_DEP_1)
	v_mad_u32 v11, s54, v7, v2
	v_mov_b64_e32 v[6:7], 0
	s_branch .LBB62_8
.LBB62_7:                               ;   in Loop: Header=BB62_8 Depth=2
	s_delay_alu instid0(VALU_DEP_1)
	v_add_nc_u64_e32 v[10:11], s[56:57], v[10:11]
	s_add_co_i32 s1, s1, 1
	s_add_co_i32 s2, s2, s16
	s_cmp_eq_u32 s1, s44
	s_cbranch_scc1 .LBB62_19
.LBB62_8:                               ;   Parent Loop BB62_3 Depth=1
                                        ; =>  This Loop Header: Depth=2
                                        ;       Child Loop BB62_11 Depth 3
                                        ;         Child Loop BB62_14 Depth 4
                                        ;           Child Loop BB62_17 Depth 5
	s_and_not1_b32 vcc_lo, exec_lo, s42
	s_cbranch_vccnz .LBB62_7
; %bb.9:                                ;   in Loop: Header=BB62_8 Depth=2
	s_mul_i32 s0, s1, s16
	s_delay_alu instid0(VALU_DEP_1)
	v_mov_b64_e32 v[12:13], v[10:11]
	s_add_co_i32 s0, s0, s19
	v_mov_b32_e32 v14, v9
	s_cmp_lt_i32 s0, 0
	s_mul_u64 s[62:63], s[40:41], s[2:3]
	s_cselect_b32 s45, -1, 0
	s_cmp_ge_i32 s0, s38
	s_mov_b32 s39, 0
	s_cselect_b32 s0, -1, 0
	s_delay_alu instid0(SALU_CYCLE_1)
	s_or_b32 s45, s45, s0
	s_branch .LBB62_11
.LBB62_10:                              ;   in Loop: Header=BB62_11 Depth=3
	v_add_nc_u64_e32 v[12:13], s[58:59], v[12:13]
	v_add_nc_u32_e32 v14, s17, v14
	s_add_co_i32 s39, s39, 1
	s_delay_alu instid0(SALU_CYCLE_1)
	s_cmp_eq_u32 s39, s46
	s_cbranch_scc1 .LBB62_7
.LBB62_11:                              ;   Parent Loop BB62_3 Depth=1
                                        ;     Parent Loop BB62_8 Depth=2
                                        ; =>    This Loop Header: Depth=3
                                        ;         Child Loop BB62_14 Depth 4
                                        ;           Child Loop BB62_17 Depth 5
	s_and_not1_b32 vcc_lo, exec_lo, s66
	s_cbranch_vccnz .LBB62_10
; %bb.12:                               ;   in Loop: Header=BB62_11 Depth=3
	v_mad_u32 v2, s39, s17, v9
	v_mov_b32_e32 v15, v3
	v_mov_b64_e32 v[18:19], v[12:13]
	s_mov_b32 s47, 0
	s_delay_alu instid0(VALU_DEP_3) | instskip(SKIP_4) | instid1(SALU_CYCLE_1)
	v_cmp_gt_i32_e32 vcc_lo, 0, v2
	v_cmp_le_i32_e64 s0, s40, v2
	v_mov_b32_e32 v2, v24
	v_add_nc_u64_e32 v[16:17], s[62:63], v[14:15]
	s_or_b32 s0, vcc_lo, s0
	s_or_b32 s74, s45, s0
	s_delay_alu instid0(VALU_DEP_1)
	v_mul_u64_e32 v[16:17], s[6:7], v[16:17]
	s_branch .LBB62_14
.LBB62_13:                              ;   in Loop: Header=BB62_14 Depth=4
	v_add_nc_u64_e32 v[18:19], s[60:61], v[18:19]
	v_add_nc_u32_e32 v2, s18, v2
	s_add_co_i32 s47, s47, 1
	s_delay_alu instid0(SALU_CYCLE_1)
	s_cmp_eq_u32 s47, s34
	s_cbranch_scc1 .LBB62_10
.LBB62_14:                              ;   Parent Loop BB62_3 Depth=1
                                        ;     Parent Loop BB62_8 Depth=2
                                        ;       Parent Loop BB62_11 Depth=3
                                        ; =>      This Loop Header: Depth=4
                                        ;           Child Loop BB62_17 Depth 5
	s_and_not1_b32 vcc_lo, exec_lo, s67
	s_cbranch_vccnz .LBB62_13
; %bb.15:                               ;   in Loop: Header=BB62_14 Depth=4
	s_delay_alu instid0(VALU_DEP_1) | instskip(SKIP_2) | instid1(VALU_DEP_2)
	v_add_nc_u64_e32 v[20:21], v[16:17], v[2:3]
	v_mad_u32 v15, s47, s18, v24
	s_mov_b32 s75, s9
	v_lshl_add_u64 v[22:23], v[20:21], 1, s[52:53]
	s_delay_alu instid0(VALU_DEP_2) | instskip(NEXT) | instid1(VALU_DEP_2)
	v_cmp_gt_i32_e32 vcc_lo, 0, v15
	v_mad_nc_u64_u32 v[20:21], s64, v22, s[20:21]
	v_cmp_le_i32_e64 s0, s6, v15
	s_or_b32 s0, vcc_lo, s0
	s_delay_alu instid0(SALU_CYCLE_1) | instskip(SKIP_1) | instid1(VALU_DEP_1)
	s_nor_b32 s0, s74, s0
	v_mad_u32 v21, s65, v22, v21
	v_mad_u32 v21, s64, v23, v21
	v_mov_b64_e32 v[22:23], v[18:19]
	s_branch .LBB62_17
.LBB62_16:                              ;   in Loop: Header=BB62_17 Depth=5
	s_wait_xcnt 0x0
	s_or_b32 exec_lo, exec_lo, s76
	s_delay_alu instid0(VALU_DEP_2) | instskip(SKIP_2) | instid1(SALU_CYCLE_1)
	v_add_nc_u64_e32 v[20:21], 2, v[20:21]
	v_add_nc_u64_e32 v[22:23], 2, v[22:23]
	s_add_co_i32 s75, s75, -1
	s_cmp_eq_u32 s75, 0
	s_cbranch_scc1 .LBB62_13
.LBB62_17:                              ;   Parent Loop BB62_3 Depth=1
                                        ;     Parent Loop BB62_8 Depth=2
                                        ;       Parent Loop BB62_11 Depth=3
                                        ;         Parent Loop BB62_14 Depth=4
                                        ; =>        This Inner Loop Header: Depth=5
	s_and_saveexec_b32 s76, s0
	s_cbranch_execz .LBB62_16
; %bb.18:                               ;   in Loop: Header=BB62_17 Depth=5
	global_load_u16 v15, v[22:23], off
	global_load_u16 v25, v[20:21], off
	s_wait_loadcnt 0x0
	v_dual_lshlrev_b32 v15, 16, v15 :: v_dual_lshlrev_b32 v25, 16, v25
	s_delay_alu instid0(VALU_DEP_1) | instskip(NEXT) | instid1(VALU_DEP_2)
	v_cvt_f64_f32_e32 v[26:27], v15
	v_cvt_f64_f32_e32 v[28:29], v25
	s_delay_alu instid0(VALU_DEP_1)
	v_fmac_f64_e32 v[6:7], v[28:29], v[26:27]
	s_branch .LBB62_16
.LBB62_19:                              ;   in Loop: Header=BB62_3 Depth=1
	s_delay_alu instid0(VALU_DEP_1) | instskip(SKIP_2) | instid1(VALU_DEP_1)
	v_ashrrev_i32_e32 v9, 31, v8
	s_and_b32 vcc_lo, exec_lo, s71
	s_mov_b32 s0, -1
	v_mad_nc_i64_i32 v[8:9], v1, s10, v[8:9]
	s_delay_alu instid0(VALU_DEP_1) | instskip(NEXT) | instid1(VALU_DEP_1)
	v_mad_nc_u64_u32 v[4:5], v8, s36, v[4:5]
	v_mad_u32 v1, v9, s36, v5
	s_delay_alu instid0(VALU_DEP_1)
	v_mad_u32 v5, v8, s37, v1
	s_cbranch_vccz .LBB62_21
; %bb.20:                               ;   in Loop: Header=BB62_3 Depth=1
	s_delay_alu instid0(VALU_DEP_1) | instskip(SKIP_3) | instid1(VALU_DEP_1)
	v_lshl_add_u64 v[8:9], v[4:5], 1, s[4:5]
	global_load_u16 v1, v[8:9], off
	s_wait_loadcnt 0x0
	v_lshlrev_b32_e32 v1, 16, v1
	v_cvt_f64_f32_e32 v[10:11], v1
	s_delay_alu instid0(VALU_DEP_1) | instskip(NEXT) | instid1(VALU_DEP_1)
	v_mul_f64_e32 v[10:11], s[26:27], v[10:11]
	v_fmac_f64_e32 v[10:11], s[24:25], v[6:7]
	s_delay_alu instid0(VALU_DEP_1) | instskip(NEXT) | instid1(VALU_DEP_1)
	v_cvt_f32_f64_e32 v1, v[10:11]
	v_and_b32_e32 v2, 0x7f800000, v1
	v_and_b32_e32 v10, 0xffff, v1
	v_lshrrev_b32_e32 v1, 16, v1
	s_delay_alu instid0(VALU_DEP_3) | instskip(NEXT) | instid1(VALU_DEP_3)
	v_cmp_eq_u32_e32 vcc_lo, 0x7f800000, v2
	v_cmp_ne_u32_e64 s0, 0, v10
	s_and_b32 s0, vcc_lo, s0
	s_delay_alu instid0(SALU_CYCLE_1) | instskip(SKIP_1) | instid1(VALU_DEP_1)
	v_cndmask_b32_e64 v2, 0, 1, s0
	s_mov_b32 s0, 0
	v_or_b32_e32 v1, v1, v2
	global_store_b16 v[8:9], v1, off
.LBB62_21:                              ;   in Loop: Header=BB62_3 Depth=1
	s_and_not1_b32 vcc_lo, exec_lo, s0
	s_cbranch_vccnz .LBB62_2
; %bb.22:                               ;   in Loop: Header=BB62_3 Depth=1
	s_wait_xcnt 0x0
	v_cvt_f32_f64_e32 v1, v[6:7]
	s_delay_alu instid0(VALU_DEP_2) | instskip(NEXT) | instid1(VALU_DEP_2)
	v_lshl_add_u64 v[4:5], v[4:5], 1, s[4:5]
	v_and_b32_e32 v2, 0x7f800000, v1
	v_and_b32_e32 v6, 0xffff, v1
	v_lshrrev_b32_e32 v1, 16, v1
	s_delay_alu instid0(VALU_DEP_3) | instskip(NEXT) | instid1(VALU_DEP_3)
	v_cmp_eq_u32_e32 vcc_lo, 0x7f800000, v2
	v_cmp_ne_u32_e64 s0, 0, v6
	s_and_b32 s0, vcc_lo, s0
	s_delay_alu instid0(SALU_CYCLE_1) | instskip(NEXT) | instid1(VALU_DEP_1)
	v_cndmask_b32_e64 v2, 0, 1, s0
	v_or_b32_e32 v1, v1, v2
	global_store_b16 v[4:5], v1, off
	s_branch .LBB62_2
.LBB62_23:
	s_endpgm
	.section	.rodata,"a",@progbits
	.p2align	6, 0x0
	.amdhsa_kernel naive_conv_ab_packed_fwd_ndhwc_ushort_double_ushort
		.amdhsa_group_segment_fixed_size 0
		.amdhsa_private_segment_fixed_size 0
		.amdhsa_kernarg_size 528
		.amdhsa_user_sgpr_count 2
		.amdhsa_user_sgpr_dispatch_ptr 0
		.amdhsa_user_sgpr_queue_ptr 0
		.amdhsa_user_sgpr_kernarg_segment_ptr 1
		.amdhsa_user_sgpr_dispatch_id 0
		.amdhsa_user_sgpr_kernarg_preload_length 0
		.amdhsa_user_sgpr_kernarg_preload_offset 0
		.amdhsa_user_sgpr_private_segment_size 0
		.amdhsa_wavefront_size32 1
		.amdhsa_uses_dynamic_stack 0
		.amdhsa_enable_private_segment 0
		.amdhsa_system_sgpr_workgroup_id_x 1
		.amdhsa_system_sgpr_workgroup_id_y 0
		.amdhsa_system_sgpr_workgroup_id_z 0
		.amdhsa_system_sgpr_workgroup_info 0
		.amdhsa_system_vgpr_workitem_id 0
		.amdhsa_next_free_vgpr 30
		.amdhsa_next_free_sgpr 77
		.amdhsa_named_barrier_count 0
		.amdhsa_reserve_vcc 1
		.amdhsa_float_round_mode_32 0
		.amdhsa_float_round_mode_16_64 0
		.amdhsa_float_denorm_mode_32 3
		.amdhsa_float_denorm_mode_16_64 3
		.amdhsa_fp16_overflow 0
		.amdhsa_memory_ordered 1
		.amdhsa_forward_progress 1
		.amdhsa_inst_pref_size 17
		.amdhsa_round_robin_scheduling 0
		.amdhsa_exception_fp_ieee_invalid_op 0
		.amdhsa_exception_fp_denorm_src 0
		.amdhsa_exception_fp_ieee_div_zero 0
		.amdhsa_exception_fp_ieee_overflow 0
		.amdhsa_exception_fp_ieee_underflow 0
		.amdhsa_exception_fp_ieee_inexact 0
		.amdhsa_exception_int_div_zero 0
	.end_amdhsa_kernel
	.text
.Lfunc_end62:
	.size	naive_conv_ab_packed_fwd_ndhwc_ushort_double_ushort, .Lfunc_end62-naive_conv_ab_packed_fwd_ndhwc_ushort_double_ushort
                                        ; -- End function
	.set naive_conv_ab_packed_fwd_ndhwc_ushort_double_ushort.num_vgpr, 30
	.set naive_conv_ab_packed_fwd_ndhwc_ushort_double_ushort.num_agpr, 0
	.set naive_conv_ab_packed_fwd_ndhwc_ushort_double_ushort.numbered_sgpr, 77
	.set naive_conv_ab_packed_fwd_ndhwc_ushort_double_ushort.num_named_barrier, 0
	.set naive_conv_ab_packed_fwd_ndhwc_ushort_double_ushort.private_seg_size, 0
	.set naive_conv_ab_packed_fwd_ndhwc_ushort_double_ushort.uses_vcc, 1
	.set naive_conv_ab_packed_fwd_ndhwc_ushort_double_ushort.uses_flat_scratch, 0
	.set naive_conv_ab_packed_fwd_ndhwc_ushort_double_ushort.has_dyn_sized_stack, 0
	.set naive_conv_ab_packed_fwd_ndhwc_ushort_double_ushort.has_recursion, 0
	.set naive_conv_ab_packed_fwd_ndhwc_ushort_double_ushort.has_indirect_call, 0
	.section	.AMDGPU.csdata,"",@progbits
; Kernel info:
; codeLenInByte = 2104
; TotalNumSgprs: 79
; NumVgprs: 30
; ScratchSize: 0
; MemoryBound: 0
; FloatMode: 240
; IeeeMode: 1
; LDSByteSize: 0 bytes/workgroup (compile time only)
; SGPRBlocks: 0
; VGPRBlocks: 1
; NumSGPRsForWavesPerEU: 79
; NumVGPRsForWavesPerEU: 30
; NamedBarCnt: 0
; Occupancy: 16
; WaveLimiterHint : 1
; COMPUTE_PGM_RSRC2:SCRATCH_EN: 0
; COMPUTE_PGM_RSRC2:USER_SGPR: 2
; COMPUTE_PGM_RSRC2:TRAP_HANDLER: 0
; COMPUTE_PGM_RSRC2:TGID_X_EN: 1
; COMPUTE_PGM_RSRC2:TGID_Y_EN: 0
; COMPUTE_PGM_RSRC2:TGID_Z_EN: 0
; COMPUTE_PGM_RSRC2:TIDIG_COMP_CNT: 0
	.text
	.protected	naive_conv_ab_nonpacked_fwd_ndhwc_ushort_double_ushort ; -- Begin function naive_conv_ab_nonpacked_fwd_ndhwc_ushort_double_ushort
	.globl	naive_conv_ab_nonpacked_fwd_ndhwc_ushort_double_ushort
	.p2align	8
	.type	naive_conv_ab_nonpacked_fwd_ndhwc_ushort_double_ushort,@function
naive_conv_ab_nonpacked_fwd_ndhwc_ushort_double_ushort: ; @naive_conv_ab_nonpacked_fwd_ndhwc_ushort_double_ushort
; %bb.0:
	s_load_b512 s[4:19], s[0:1], 0xb8
	s_bfe_u32 s2, ttmp6, 0x4000c
	s_and_b32 s3, ttmp6, 15
	s_add_co_i32 s2, s2, 1
	s_getreg_b32 s20, hwreg(HW_REG_IB_STS2, 6, 4)
	s_mul_i32 s2, ttmp9, s2
	s_mov_b32 s25, exec_lo
	s_add_co_i32 s3, s3, s2
	s_cmp_eq_u32 s20, 0
	s_cselect_b32 s20, ttmp9, s3
	s_wait_kmcnt 0x0
	s_abs_i32 s3, s10
	s_mul_i32 s82, s12, s8
	s_cvt_f32_u32 s2, s3
	s_delay_alu instid0(SALU_CYCLE_3) | instskip(SKIP_1) | instid1(TRANS32_DEP_1)
	v_rcp_iflag_f32_e32 v1, s2
	v_nop
	v_readfirstlane_b32 s2, v1
	s_mul_f32 s2, s2, 0x4f7ffffe
	s_delay_alu instid0(SALU_CYCLE_3) | instskip(SKIP_1) | instid1(SALU_CYCLE_2)
	s_cvt_u32_f32 s21, s2
	s_sub_co_i32 s2, 0, s3
	s_mul_i32 s2, s2, s21
	s_delay_alu instid0(SALU_CYCLE_1) | instskip(SKIP_2) | instid1(SALU_CYCLE_1)
	s_mul_hi_u32 s22, s21, s2
	s_abs_i32 s2, s20
	s_add_co_i32 s21, s21, s22
	s_mul_hi_u32 s21, s2, s21
	s_delay_alu instid0(SALU_CYCLE_1) | instskip(SKIP_2) | instid1(SALU_CYCLE_1)
	s_mul_i32 s22, s21, s3
	s_add_co_i32 s23, s21, 1
	s_sub_co_i32 s22, s2, s22
	s_sub_co_i32 s24, s22, s3
	s_cmp_ge_u32 s22, s3
	s_cselect_b32 s21, s23, s21
	s_cselect_b32 s22, s24, s22
	s_add_co_i32 s23, s21, 1
	s_cmp_ge_u32 s22, s3
	s_mul_i32 s22, s10, s7
	s_cselect_b32 s23, s23, s21
	s_abs_i32 s21, s7
	s_abs_i32 s33, s22
	s_cvt_f32_u32 s3, s21
	s_cvt_f32_u32 s7, s33
	s_delay_alu instid0(SALU_CYCLE_2) | instskip(NEXT) | instid1(SALU_CYCLE_2)
	v_rcp_iflag_f32_e32 v1, s3
	v_rcp_iflag_f32_e32 v2, s7
	s_mul_i32 s7, s82, s11
	s_mov_b32 s3, 0
	s_delay_alu instid0(TRANS32_DEP_2) | instskip(NEXT) | instid1(TRANS32_DEP_1)
	v_readfirstlane_b32 s24, v1
	v_readfirstlane_b32 s11, v2
	v_cmpx_gt_i32_e64 s7, v0
	s_cbranch_execz .LBB63_23
; %bb.1:
	s_mul_f32 s24, s24, 0x4f7ffffe
	s_ashr_i32 s56, s20, 31
	s_ashr_i32 s25, s10, 31
	s_mul_f32 s11, s11, 0x4f7ffffe
	s_cvt_u32_f32 s26, s24
	s_xor_b32 s25, s56, s25
	s_sub_co_i32 s24, 0, s21
	s_xor_b32 s23, s23, s25
	s_mul_i32 s24, s24, s26
	s_cvt_u32_f32 s11, s11
	s_sub_co_i32 s23, s23, s25
	s_mul_hi_u32 s25, s26, s24
	s_sub_co_i32 s28, 0, s33
	s_abs_i32 s24, s23
	s_add_co_i32 s26, s26, s25
	s_mov_b32 s25, s3
	s_mov_b32 s27, s3
	s_mul_i32 s28, s28, s11
	s_mul_u64 s[26:27], s[24:25], s[26:27]
	s_mul_hi_u32 s25, s11, s28
	s_ashr_i32 s26, s22, 31
	s_add_co_i32 s22, s11, s25
	s_mul_i32 s11, s27, s21
	s_ashr_i32 s57, s23, 31
	s_mul_i32 s23, s23, s10
	s_sub_co_i32 s11, s24, s11
	s_sub_co_i32 s10, s20, s23
	;; [unrolled: 1-line block ×3, first 2 shown]
	s_cmp_ge_u32 s11, s21
	s_mov_b32 s23, s3
	s_cselect_b32 s11, s20, s11
	s_mul_u64 s[34:35], s[2:3], s[22:23]
	s_sub_co_i32 s20, s11, s21
	s_cmp_ge_u32 s11, s21
	s_load_b512 s[36:51], s[0:1], 0x68
	s_cselect_b32 s11, s20, s11
	s_xor_b32 s56, s56, s26
	s_xor_b32 s11, s11, s57
	s_load_b256 s[20:27], s[0:1], 0x0
	s_sub_co_i32 s68, s11, s57
	s_mul_i32 s11, s35, s33
	s_clause 0x1
	s_load_b128 s[28:31], s[0:1], 0xf8
	s_load_b128 s[52:55], s[0:1], 0xa8
	s_sub_co_i32 s2, s2, s11
	s_add_co_i32 s11, s35, 1
	s_sub_co_i32 s34, s2, s33
	s_cmp_ge_u32 s2, s33
	v_mov_b32_e32 v3, 0
	s_cselect_b32 s11, s11, s35
	s_cselect_b32 s2, s34, s2
	s_add_co_i32 s34, s11, 1
	s_cmp_ge_u32 s2, s33
	s_load_b32 s33, s[0:1], 0x108
	s_cselect_b32 s2, s34, s11
	s_ashr_i32 s69, s68, 31
	s_xor_b32 s2, s2, s56
	s_ashr_i32 s11, s10, 31
	s_sub_co_i32 s70, s2, s56
	s_load_b64 s[34:35], s[0:1], 0x20
	s_ashr_i32 s71, s70, 31
	s_wait_kmcnt 0x0
	v_cmp_neq_f64_e64 s2, s[24:25], 1.0
	v_cmp_neq_f64_e64 s80, s[26:27], 0
	s_mul_u64 s[54:55], s[54:55], s[68:69]
	s_mul_u64 s[52:53], s[52:53], s[10:11]
	;; [unrolled: 1-line block ×3, first 2 shown]
	s_lshl_b64 s[54:55], s[54:55], 1
	s_lshl_b64 s[78:79], s[52:53], 1
	;; [unrolled: 1-line block ×3, first 2 shown]
	s_cmp_lt_i32 s30, 1
	s_mul_i32 s10, s10, s13
	s_cselect_b32 s72, -1, 0
	s_sub_co_i32 s19, s10, s19
	s_cmp_gt_i32 s31, 0
	s_load_b32 s13, s[0:1], 0x11c
	s_cselect_b32 s73, -1, 0
	s_cmp_gt_i32 s33, 0
	s_cselect_b32 s74, -1, 0
	s_cmp_gt_i32 s9, 0
	s_cselect_b32 s75, -1, 0
	s_abs_i32 s76, s8
	s_abs_i32 s77, s12
	s_cvt_f32_u32 s10, s76
	s_cvt_f32_u32 s12, s77
	s_ashr_i32 s81, s8, 31
	s_lshl_b64 s[40:41], s[40:41], 1
	v_rcp_iflag_f32_e32 v1, s10
	s_add_nc_u64 s[10:11], s[34:35], s[54:55]
	s_load_b512 s[52:67], s[0:1], 0x28
	s_wait_xcnt 0x0
	s_add_nc_u64 s[0:1], s[10:11], s[78:79]
	v_rcp_iflag_f32_e32 v2, s12
	s_abs_i32 s78, s82
	s_add_nc_u64 s[10:11], s[0:1], s[46:47]
	v_nop
	v_readfirstlane_b32 s12, v1
	s_cvt_f32_u32 s0, s78
	s_or_b32 s79, s2, s80
	s_wait_kmcnt 0x0
	s_and_b32 s80, s13, 0xffff
	v_readfirstlane_b32 s2, v2
	s_mul_f32 s1, s12, 0x4f7ffffe
	v_rcp_iflag_f32_e32 v1, s0
	s_mov_b32 s35, s3
	s_ashr_i32 s82, s82, 31
	s_cvt_u32_f32 s0, s1
	s_sub_co_i32 s1, 0, s76
	s_mul_f32 s2, s2, 0x4f7ffffe
	s_lshl_b64 s[38:39], s[38:39], 1
	v_nop
	v_readfirstlane_b32 s13, v1
	s_mul_i32 s1, s1, s0
	s_cvt_u32_f32 s2, s2
	s_mul_hi_u32 s1, s0, s1
	s_lshl_b64 s[36:37], s[36:37], 1
	s_add_co_i32 s12, s0, s1
	s_sub_co_i32 s0, 0, s77
	s_mul_f32 s1, s13, 0x4f7ffffe
	s_mul_i32 s0, s0, s2
	s_mov_b32 s13, s3
	s_mul_hi_u32 s0, s2, s0
	s_cvt_u32_f32 s46, s1
	s_add_co_i32 s34, s2, s0
	s_sub_co_i32 s0, 0, s78
	s_lshl_b64 s[60:61], s[60:61], 1
	s_mul_i32 s0, s0, s46
	s_lshl_b64 s[58:59], s[58:59], 1
	s_mul_hi_u32 s2, s46, s0
	s_mul_u64 s[0:1], s[42:43], s[70:71]
	s_add_co_i32 s42, s46, s2
	s_lshl_b64 s[0:1], s[0:1], 1
	s_mul_u64 s[46:47], s[62:63], s[68:69]
	s_add_nc_u64 s[22:23], s[22:23], s[0:1]
	s_mul_u64 s[0:1], s[54:55], s[70:71]
	s_lshl_b64 s[54:55], s[46:47], 1
	s_lshl_b64 s[0:1], s[0:1], 1
	s_mov_b32 s43, s3
	s_add_nc_u64 s[0:1], s[0:1], s[54:55]
	s_lshl_b64 s[46:47], s[66:67], 1
	s_lshl_b64 s[54:55], s[64:65], 1
	s_add_nc_u64 s[20:21], s[20:21], s[0:1]
	s_lshl_b64 s[56:57], s[56:57], 1
	s_lshl_b64 s[52:53], s[52:53], 1
	s_mov_b32 s64, 0
	s_branch .LBB63_3
.LBB63_2:                               ;   in Loop: Header=BB63_3 Depth=1
	v_add_nc_u32_e32 v0, s80, v0
	s_delay_alu instid0(VALU_DEP_1)
	v_cmp_le_i32_e32 vcc_lo, s7, v0
	s_or_b32 s64, vcc_lo, s64
	s_wait_xcnt 0x0
	s_and_not1_b32 exec_lo, exec_lo, s64
	s_cbranch_execz .LBB63_23
.LBB63_3:                               ; =>This Loop Header: Depth=1
                                        ;     Child Loop BB63_8 Depth 2
                                        ;       Child Loop BB63_11 Depth 3
                                        ;         Child Loop BB63_14 Depth 4
                                        ;           Child Loop BB63_17 Depth 5
	v_sub_nc_u32_e32 v1, 0, v0
	s_mov_b32 s62, -1
	v_dual_mov_b32 v9, v3 :: v_dual_ashrrev_i32 v6, 31, v0
	s_delay_alu instid0(VALU_DEP_2) | instskip(NEXT) | instid1(VALU_DEP_1)
	v_max_i32_e32 v2, v0, v1
	v_mul_u64_e32 v[4:5], s[12:13], v[2:3]
	s_delay_alu instid0(VALU_DEP_1) | instskip(SKIP_1) | instid1(VALU_DEP_2)
	v_mul_lo_u32 v1, v5, s76
	v_add_nc_u32_e32 v4, 1, v5
	v_sub_nc_u32_e32 v1, v2, v1
	s_delay_alu instid0(VALU_DEP_1) | instskip(SKIP_1) | instid1(VALU_DEP_4)
	v_subrev_nc_u32_e32 v7, s76, v1
	v_cmp_le_u32_e32 vcc_lo, s76, v1
	v_cndmask_b32_e32 v4, v5, v4, vcc_lo
	s_delay_alu instid0(VALU_DEP_1) | instskip(NEXT) | instid1(VALU_DEP_1)
	v_dual_cndmask_b32 v1, v1, v7, vcc_lo :: v_dual_add_nc_u32 v5, 1, v4
	v_cmp_le_u32_e32 vcc_lo, s76, v1
	s_delay_alu instid0(VALU_DEP_2) | instskip(SKIP_1) | instid1(VALU_DEP_2)
	v_dual_cndmask_b32 v1, v4, v5, vcc_lo :: v_dual_bitop2_b32 v7, s81, v6 bitop3:0x14
	v_mul_u64_e32 v[4:5], s[42:43], v[2:3]
	v_xor_b32_e32 v1, v1, v7
	s_delay_alu instid0(VALU_DEP_1) | instskip(NEXT) | instid1(VALU_DEP_3)
	v_sub_nc_u32_e32 v7, v1, v7
	v_mul_lo_u32 v4, v5, s78
	s_delay_alu instid0(VALU_DEP_1) | instskip(NEXT) | instid1(VALU_DEP_1)
	v_dual_sub_nc_u32 v1, 0, v7 :: v_dual_sub_nc_u32 v2, v2, v4
	v_max_i32_e32 v8, v7, v1
	s_delay_alu instid0(VALU_DEP_2) | instskip(NEXT) | instid1(VALU_DEP_2)
	v_cmp_le_u32_e64 s0, s78, v2
	v_mul_u64_e32 v[10:11], s[34:35], v[8:9]
	v_subrev_nc_u32_e32 v9, s78, v2
	s_delay_alu instid0(VALU_DEP_2) | instskip(NEXT) | instid1(VALU_DEP_1)
	v_mul_lo_u32 v1, v11, s77
	v_sub_nc_u32_e32 v1, v8, v1
	v_mul_lo_u32 v8, v7, s8
	s_delay_alu instid0(VALU_DEP_2) | instskip(SKIP_1) | instid1(VALU_DEP_2)
	v_subrev_nc_u32_e32 v4, s77, v1
	v_cmp_le_u32_e32 vcc_lo, s77, v1
	v_dual_cndmask_b32 v4, v1, v4, vcc_lo :: v_dual_cndmask_b32 v1, v2, v9, s0
	s_delay_alu instid0(VALU_DEP_4) | instskip(SKIP_1) | instid1(VALU_DEP_2)
	v_sub_nc_u32_e32 v2, v0, v8
	s_and_not1_b32 vcc_lo, exec_lo, s72
	v_cmp_le_u32_e64 s2, s77, v4
	s_delay_alu instid0(VALU_DEP_3)
	v_cmp_le_u32_e64 s1, s78, v1
                                        ; implicit-def: $vgpr1
	s_cbranch_vccnz .LBB63_5
; %bb.4:                                ;   in Loop: Header=BB63_3 Depth=1
	v_ashrrev_i32_e32 v1, 31, v2
	s_mov_b32 s62, 0
.LBB63_5:                               ;   in Loop: Header=BB63_3 Depth=1
	v_add_nc_u32_e32 v8, 1, v5
	s_and_not1_b32 vcc_lo, exec_lo, s62
	s_delay_alu instid0(VALU_DEP_1) | instskip(SKIP_1) | instid1(VALU_DEP_1)
	v_dual_ashrrev_i32 v7, 31, v7 :: v_dual_cndmask_b32 v5, v5, v8, s0
	v_subrev_nc_u32_e32 v8, s77, v4
	v_dual_add_nc_u32 v9, 1, v5 :: v_dual_cndmask_b32 v4, v4, v8, s2
	s_delay_alu instid0(VALU_DEP_1) | instskip(NEXT) | instid1(VALU_DEP_2)
	v_dual_cndmask_b32 v5, v5, v9, s1 :: v_dual_bitop2_b32 v8, s82, v6 bitop3:0x14
	v_xor_b32_e32 v6, v4, v7
	s_delay_alu instid0(VALU_DEP_1) | instskip(SKIP_1) | instid1(VALU_DEP_2)
	v_dual_sub_nc_u32 v6, v6, v7 :: v_dual_bitop2_b32 v9, v5, v8 bitop3:0x14
	v_mov_b64_e32 v[4:5], 0
	v_sub_nc_u32_e32 v20, v9, v8
	s_cbranch_vccnz .LBB63_19
; %bb.6:                                ;   in Loop: Header=BB63_3 Depth=1
	v_mad_nc_u64_u32 v[8:9], s40, v2, s[22:23]
	s_delay_alu instid0(VALU_DEP_2) | instskip(SKIP_4) | instid1(VALU_DEP_4)
	v_mul_lo_u32 v7, v20, s14
	v_mul_lo_u32 v10, v6, s15
	v_ashrrev_i32_e32 v1, 31, v2
	s_mov_b32 s1, 0
	s_mov_b32 s2, s19
	v_mad_u32 v4, s41, v2, v9
	s_delay_alu instid0(VALU_DEP_4) | instskip(NEXT) | instid1(VALU_DEP_4)
	v_subrev_nc_u32_e32 v7, s28, v7
	v_subrev_nc_u32_e32 v21, s29, v10
	s_delay_alu instid0(VALU_DEP_3)
	v_mad_u32 v9, s40, v1, v4
	v_mov_b64_e32 v[4:5], 0
	s_branch .LBB63_8
.LBB63_7:                               ;   in Loop: Header=BB63_8 Depth=2
	s_delay_alu instid0(VALU_DEP_1)
	v_add_nc_u64_e32 v[8:9], s[38:39], v[8:9]
	s_add_co_i32 s1, s1, 1
	s_add_co_i32 s2, s2, s16
	s_cmp_eq_u32 s1, s30
	s_cbranch_scc1 .LBB63_19
.LBB63_8:                               ;   Parent Loop BB63_3 Depth=1
                                        ; =>  This Loop Header: Depth=2
                                        ;       Child Loop BB63_11 Depth 3
                                        ;         Child Loop BB63_14 Depth 4
                                        ;           Child Loop BB63_17 Depth 5
	s_and_not1_b32 vcc_lo, exec_lo, s73
	s_cbranch_vccnz .LBB63_7
; %bb.9:                                ;   in Loop: Header=BB63_8 Depth=2
	s_mul_i32 s0, s1, s16
	s_delay_alu instid0(VALU_DEP_1)
	v_mov_b64_e32 v[10:11], v[8:9]
	s_add_co_i32 s0, s0, s19
	v_mov_b32_e32 v22, v7
	s_cmp_lt_i32 s0, 0
	s_mul_u64 s[62:63], s[60:61], s[2:3]
	s_cselect_b32 s66, -1, 0
	s_cmp_ge_i32 s0, s4
	s_mov_b32 s65, 0
	s_cselect_b32 s0, -1, 0
	s_add_nc_u64 s[62:63], s[20:21], s[62:63]
	s_or_b32 s66, s66, s0
	s_branch .LBB63_11
.LBB63_10:                              ;   in Loop: Header=BB63_11 Depth=3
	v_add_nc_u64_e32 v[10:11], s[36:37], v[10:11]
	v_add_nc_u32_e32 v22, s17, v22
	s_add_co_i32 s65, s65, 1
	s_delay_alu instid0(SALU_CYCLE_1)
	s_cmp_eq_u32 s65, s31
	s_cbranch_scc1 .LBB63_7
.LBB63_11:                              ;   Parent Loop BB63_3 Depth=1
                                        ;     Parent Loop BB63_8 Depth=2
                                        ; =>    This Loop Header: Depth=3
                                        ;         Child Loop BB63_14 Depth 4
                                        ;           Child Loop BB63_17 Depth 5
	s_and_not1_b32 vcc_lo, exec_lo, s74
	s_cbranch_vccnz .LBB63_10
; %bb.12:                               ;   in Loop: Header=BB63_11 Depth=3
	v_mad_nc_u64_u32 v[12:13], s58, v22, s[62:63]
	v_mad_u32 v14, s65, s17, v7
	v_mov_b32_e32 v23, v21
	s_mov_b32 s67, 0
	s_delay_alu instid0(VALU_DEP_3) | instskip(NEXT) | instid1(VALU_DEP_3)
	v_mad_u32 v13, s59, v22, v13
	v_cmp_gt_i32_e32 vcc_lo, 0, v14
	v_cmp_le_i32_e64 s0, s5, v14
	v_mov_b64_e32 v[14:15], v[10:11]
	s_or_b32 s0, vcc_lo, s0
	s_delay_alu instid0(SALU_CYCLE_1)
	s_or_b32 s68, s66, s0
	s_branch .LBB63_14
.LBB63_13:                              ;   in Loop: Header=BB63_14 Depth=4
	s_delay_alu instid0(VALU_DEP_1) | instskip(SKIP_2) | instid1(SALU_CYCLE_1)
	v_add_nc_u64_e32 v[14:15], s[46:47], v[14:15]
	v_add_nc_u32_e32 v23, s18, v23
	s_add_co_i32 s67, s67, 1
	s_cmp_eq_u32 s67, s33
	s_cbranch_scc1 .LBB63_10
.LBB63_14:                              ;   Parent Loop BB63_3 Depth=1
                                        ;     Parent Loop BB63_8 Depth=2
                                        ;       Parent Loop BB63_11 Depth=3
                                        ; =>      This Loop Header: Depth=4
                                        ;           Child Loop BB63_17 Depth 5
	s_and_not1_b32 vcc_lo, exec_lo, s75
	s_cbranch_vccnz .LBB63_13
; %bb.15:                               ;   in Loop: Header=BB63_14 Depth=4
	v_mad_nc_u64_u32 v[16:17], s56, v23, v[12:13]
	v_mad_u32 v18, s67, s18, v21
	s_mov_b32 s69, s9
	s_delay_alu instid0(VALU_DEP_2) | instskip(NEXT) | instid1(VALU_DEP_2)
	v_mad_u32 v17, s57, v23, v17
	v_cmp_gt_i32_e32 vcc_lo, 0, v18
	v_cmp_le_i32_e64 s0, s6, v18
	v_mov_b64_e32 v[18:19], v[14:15]
	s_or_b32 s0, vcc_lo, s0
	s_delay_alu instid0(SALU_CYCLE_1)
	s_nor_b32 s0, s68, s0
	s_branch .LBB63_17
.LBB63_16:                              ;   in Loop: Header=BB63_17 Depth=5
	s_wait_xcnt 0x0
	s_or_b32 exec_lo, exec_lo, s70
	v_add_nc_u64_e32 v[18:19], s[54:55], v[18:19]
	v_add_nc_u64_e32 v[16:17], s[52:53], v[16:17]
	s_add_co_i32 s69, s69, -1
	s_delay_alu instid0(SALU_CYCLE_1)
	s_cmp_eq_u32 s69, 0
	s_cbranch_scc1 .LBB63_13
.LBB63_17:                              ;   Parent Loop BB63_3 Depth=1
                                        ;     Parent Loop BB63_8 Depth=2
                                        ;       Parent Loop BB63_11 Depth=3
                                        ;         Parent Loop BB63_14 Depth=4
                                        ; =>        This Inner Loop Header: Depth=5
	s_and_saveexec_b32 s70, s0
	s_cbranch_execz .LBB63_16
; %bb.18:                               ;   in Loop: Header=BB63_17 Depth=5
	global_load_u16 v24, v[18:19], off
	global_load_u16 v25, v[16:17], off
	s_wait_loadcnt 0x0
	v_dual_lshlrev_b32 v24, 16, v24 :: v_dual_lshlrev_b32 v26, 16, v25
	s_delay_alu instid0(VALU_DEP_1) | instskip(NEXT) | instid1(VALU_DEP_2)
	v_cvt_f64_f32_e32 v[24:25], v24
	v_cvt_f64_f32_e32 v[26:27], v26
	s_delay_alu instid0(VALU_DEP_1)
	v_fmac_f64_e32 v[4:5], v[26:27], v[24:25]
	s_branch .LBB63_16
.LBB63_19:                              ;   in Loop: Header=BB63_3 Depth=1
	s_delay_alu instid0(VALU_DEP_1) | instskip(SKIP_2) | instid1(VALU_DEP_1)
	v_dual_ashrrev_i32 v7, 31, v6 :: v_dual_ashrrev_i32 v8, 31, v20
	s_and_b32 vcc_lo, exec_lo, s79
	s_mov_b32 s0, -1
	v_mul_u64_e32 v[6:7], s[48:49], v[6:7]
	s_delay_alu instid0(VALU_DEP_1) | instskip(NEXT) | instid1(VALU_DEP_1)
	v_mad_nc_u64_u32 v[6:7], s50, v20, v[6:7]
	v_mad_u32 v7, s51, v20, v7
	s_delay_alu instid0(VALU_DEP_1) | instskip(NEXT) | instid1(VALU_DEP_1)
	v_mad_u32 v7, s50, v8, v7
	v_mad_nc_u64_u32 v[6:7], v2, s44, v[6:7]
	s_delay_alu instid0(VALU_DEP_1) | instskip(NEXT) | instid1(VALU_DEP_1)
	v_mad_u32 v1, v1, s44, v7
	v_mad_u32 v7, v2, s45, v1
	s_cbranch_vccz .LBB63_21
; %bb.20:                               ;   in Loop: Header=BB63_3 Depth=1
	s_delay_alu instid0(VALU_DEP_1) | instskip(SKIP_3) | instid1(VALU_DEP_1)
	v_lshl_add_u64 v[8:9], v[6:7], 1, s[10:11]
	global_load_u16 v1, v[8:9], off
	s_wait_loadcnt 0x0
	v_lshlrev_b32_e32 v1, 16, v1
	v_cvt_f64_f32_e32 v[10:11], v1
	s_delay_alu instid0(VALU_DEP_1) | instskip(NEXT) | instid1(VALU_DEP_1)
	v_mul_f64_e32 v[10:11], s[26:27], v[10:11]
	v_fmac_f64_e32 v[10:11], s[24:25], v[4:5]
	s_delay_alu instid0(VALU_DEP_1) | instskip(NEXT) | instid1(VALU_DEP_1)
	v_cvt_f32_f64_e32 v1, v[10:11]
	v_and_b32_e32 v2, 0x7f800000, v1
	v_and_b32_e32 v10, 0xffff, v1
	v_lshrrev_b32_e32 v1, 16, v1
	s_delay_alu instid0(VALU_DEP_3) | instskip(NEXT) | instid1(VALU_DEP_3)
	v_cmp_eq_u32_e32 vcc_lo, 0x7f800000, v2
	v_cmp_ne_u32_e64 s0, 0, v10
	s_and_b32 s0, vcc_lo, s0
	s_delay_alu instid0(SALU_CYCLE_1) | instskip(SKIP_1) | instid1(VALU_DEP_1)
	v_cndmask_b32_e64 v2, 0, 1, s0
	s_mov_b32 s0, 0
	v_or_b32_e32 v1, v1, v2
	global_store_b16 v[8:9], v1, off
.LBB63_21:                              ;   in Loop: Header=BB63_3 Depth=1
	s_and_not1_b32 vcc_lo, exec_lo, s0
	s_cbranch_vccnz .LBB63_2
; %bb.22:                               ;   in Loop: Header=BB63_3 Depth=1
	s_wait_xcnt 0x0
	v_cvt_f32_f64_e32 v1, v[4:5]
	s_delay_alu instid0(VALU_DEP_1) | instskip(SKIP_2) | instid1(VALU_DEP_3)
	v_and_b32_e32 v2, 0x7f800000, v1
	v_and_b32_e32 v4, 0xffff, v1
	v_lshrrev_b32_e32 v1, 16, v1
	v_cmp_eq_u32_e32 vcc_lo, 0x7f800000, v2
	s_delay_alu instid0(VALU_DEP_3) | instskip(SKIP_2) | instid1(SALU_CYCLE_1)
	v_cmp_ne_u32_e64 s0, 0, v4
	v_lshl_add_u64 v[4:5], v[6:7], 1, s[10:11]
	s_and_b32 s0, vcc_lo, s0
	v_cndmask_b32_e64 v2, 0, 1, s0
	s_delay_alu instid0(VALU_DEP_1)
	v_or_b32_e32 v1, v1, v2
	global_store_b16 v[4:5], v1, off
	s_branch .LBB63_2
.LBB63_23:
	s_endpgm
	.section	.rodata,"a",@progbits
	.p2align	6, 0x0
	.amdhsa_kernel naive_conv_ab_nonpacked_fwd_ndhwc_ushort_double_ushort
		.amdhsa_group_segment_fixed_size 0
		.amdhsa_private_segment_fixed_size 0
		.amdhsa_kernarg_size 528
		.amdhsa_user_sgpr_count 2
		.amdhsa_user_sgpr_dispatch_ptr 0
		.amdhsa_user_sgpr_queue_ptr 0
		.amdhsa_user_sgpr_kernarg_segment_ptr 1
		.amdhsa_user_sgpr_dispatch_id 0
		.amdhsa_user_sgpr_kernarg_preload_length 0
		.amdhsa_user_sgpr_kernarg_preload_offset 0
		.amdhsa_user_sgpr_private_segment_size 0
		.amdhsa_wavefront_size32 1
		.amdhsa_uses_dynamic_stack 0
		.amdhsa_enable_private_segment 0
		.amdhsa_system_sgpr_workgroup_id_x 1
		.amdhsa_system_sgpr_workgroup_id_y 0
		.amdhsa_system_sgpr_workgroup_id_z 0
		.amdhsa_system_sgpr_workgroup_info 0
		.amdhsa_system_vgpr_workitem_id 0
		.amdhsa_next_free_vgpr 28
		.amdhsa_next_free_sgpr 83
		.amdhsa_named_barrier_count 0
		.amdhsa_reserve_vcc 1
		.amdhsa_float_round_mode_32 0
		.amdhsa_float_round_mode_16_64 0
		.amdhsa_float_denorm_mode_32 3
		.amdhsa_float_denorm_mode_16_64 3
		.amdhsa_fp16_overflow 0
		.amdhsa_memory_ordered 1
		.amdhsa_forward_progress 1
		.amdhsa_inst_pref_size 17
		.amdhsa_round_robin_scheduling 0
		.amdhsa_exception_fp_ieee_invalid_op 0
		.amdhsa_exception_fp_denorm_src 0
		.amdhsa_exception_fp_ieee_div_zero 0
		.amdhsa_exception_fp_ieee_overflow 0
		.amdhsa_exception_fp_ieee_underflow 0
		.amdhsa_exception_fp_ieee_inexact 0
		.amdhsa_exception_int_div_zero 0
	.end_amdhsa_kernel
	.text
.Lfunc_end63:
	.size	naive_conv_ab_nonpacked_fwd_ndhwc_ushort_double_ushort, .Lfunc_end63-naive_conv_ab_nonpacked_fwd_ndhwc_ushort_double_ushort
                                        ; -- End function
	.set naive_conv_ab_nonpacked_fwd_ndhwc_ushort_double_ushort.num_vgpr, 28
	.set naive_conv_ab_nonpacked_fwd_ndhwc_ushort_double_ushort.num_agpr, 0
	.set naive_conv_ab_nonpacked_fwd_ndhwc_ushort_double_ushort.numbered_sgpr, 83
	.set naive_conv_ab_nonpacked_fwd_ndhwc_ushort_double_ushort.num_named_barrier, 0
	.set naive_conv_ab_nonpacked_fwd_ndhwc_ushort_double_ushort.private_seg_size, 0
	.set naive_conv_ab_nonpacked_fwd_ndhwc_ushort_double_ushort.uses_vcc, 1
	.set naive_conv_ab_nonpacked_fwd_ndhwc_ushort_double_ushort.uses_flat_scratch, 0
	.set naive_conv_ab_nonpacked_fwd_ndhwc_ushort_double_ushort.has_dyn_sized_stack, 0
	.set naive_conv_ab_nonpacked_fwd_ndhwc_ushort_double_ushort.has_recursion, 0
	.set naive_conv_ab_nonpacked_fwd_ndhwc_ushort_double_ushort.has_indirect_call, 0
	.section	.AMDGPU.csdata,"",@progbits
; Kernel info:
; codeLenInByte = 2052
; TotalNumSgprs: 85
; NumVgprs: 28
; ScratchSize: 0
; MemoryBound: 0
; FloatMode: 240
; IeeeMode: 1
; LDSByteSize: 0 bytes/workgroup (compile time only)
; SGPRBlocks: 0
; VGPRBlocks: 1
; NumSGPRsForWavesPerEU: 85
; NumVGPRsForWavesPerEU: 28
; NamedBarCnt: 0
; Occupancy: 16
; WaveLimiterHint : 1
; COMPUTE_PGM_RSRC2:SCRATCH_EN: 0
; COMPUTE_PGM_RSRC2:USER_SGPR: 2
; COMPUTE_PGM_RSRC2:TRAP_HANDLER: 0
; COMPUTE_PGM_RSRC2:TGID_X_EN: 1
; COMPUTE_PGM_RSRC2:TGID_Y_EN: 0
; COMPUTE_PGM_RSRC2:TGID_Z_EN: 0
; COMPUTE_PGM_RSRC2:TIDIG_COMP_CNT: 0
	.text
	.protected	naive_conv_ab_packed_fwd_ndhwc_int8_t_int32_t_int32_t ; -- Begin function naive_conv_ab_packed_fwd_ndhwc_int8_t_int32_t_int32_t
	.globl	naive_conv_ab_packed_fwd_ndhwc_int8_t_int32_t_int32_t
	.p2align	8
	.type	naive_conv_ab_packed_fwd_ndhwc_int8_t_int32_t_int32_t,@function
naive_conv_ab_packed_fwd_ndhwc_int8_t_int32_t_int32_t: ; @naive_conv_ab_packed_fwd_ndhwc_int8_t_int32_t_int32_t
; %bb.0:
	s_load_b512 s[4:19], s[0:1], 0xb8
	s_bfe_u32 s2, ttmp6, 0x4000c
	s_and_b32 s3, ttmp6, 15
	s_add_co_i32 s2, s2, 1
	s_getreg_b32 s20, hwreg(HW_REG_IB_STS2, 6, 4)
	s_mul_i32 s2, ttmp9, s2
	s_mov_b32 s26, exec_lo
	s_add_co_i32 s3, s3, s2
	s_cmp_eq_u32 s20, 0
	s_cselect_b32 s20, ttmp9, s3
	s_wait_kmcnt 0x0
	s_abs_i32 s3, s10
	s_mul_i32 s56, s12, s8
	s_cvt_f32_u32 s2, s3
	s_mul_i32 s33, s56, s11
	s_delay_alu instid0(SALU_CYCLE_2) | instskip(SKIP_1) | instid1(TRANS32_DEP_1)
	v_rcp_iflag_f32_e32 v1, s2
	v_nop
	v_readfirstlane_b32 s2, v1
	s_mul_f32 s2, s2, 0x4f7ffffe
	s_delay_alu instid0(SALU_CYCLE_3) | instskip(SKIP_1) | instid1(SALU_CYCLE_2)
	s_cvt_u32_f32 s21, s2
	s_sub_co_i32 s2, 0, s3
	s_mul_i32 s2, s2, s21
	s_delay_alu instid0(SALU_CYCLE_1) | instskip(SKIP_2) | instid1(SALU_CYCLE_1)
	s_mul_hi_u32 s22, s21, s2
	s_abs_i32 s2, s20
	s_add_co_i32 s21, s21, s22
	s_mul_hi_u32 s21, s2, s21
	s_delay_alu instid0(SALU_CYCLE_1) | instskip(SKIP_2) | instid1(SALU_CYCLE_1)
	s_mul_i32 s22, s21, s3
	s_add_co_i32 s23, s21, 1
	s_sub_co_i32 s22, s2, s22
	s_sub_co_i32 s24, s22, s3
	s_cmp_ge_u32 s22, s3
	s_cselect_b32 s21, s23, s21
	s_cselect_b32 s22, s24, s22
	s_add_co_i32 s23, s21, 1
	s_cmp_ge_u32 s22, s3
	s_mul_i32 s22, s10, s7
	s_cselect_b32 s24, s23, s21
	s_abs_i32 s21, s7
	s_abs_i32 s7, s22
	s_cvt_f32_u32 s3, s21
	s_cvt_f32_u32 s23, s7
	s_delay_alu instid0(SALU_CYCLE_2) | instskip(NEXT) | instid1(SALU_CYCLE_2)
	v_rcp_iflag_f32_e32 v1, s3
	v_rcp_iflag_f32_e32 v2, s23
	s_mov_b32 s3, 0
	s_delay_alu instid0(TRANS32_DEP_2) | instskip(NEXT) | instid1(TRANS32_DEP_1)
	v_readfirstlane_b32 s25, v1
	v_readfirstlane_b32 s23, v2
	v_cmpx_gt_i32_e64 s33, v0
	s_cbranch_execz .LBB64_23
; %bb.1:
	s_ashr_i32 s28, s20, 31
	s_ashr_i32 s51, s10, 31
	s_mul_f32 s25, s25, 0x4f7ffffe
	s_xor_b32 s26, s28, s51
	s_mul_f32 s23, s23, 0x4f7ffffe
	s_xor_b32 s24, s24, s26
	s_cvt_u32_f32 s25, s25
	s_sub_co_i32 s29, s24, s26
	s_sub_co_i32 s24, 0, s21
	s_cvt_u32_f32 s23, s23
	s_mul_i32 s24, s24, s25
	s_sub_co_i32 s31, 0, s7
	s_mul_hi_u32 s26, s25, s24
	s_abs_i32 s24, s29
	s_add_co_i32 s26, s25, s26
	s_mov_b32 s25, s3
	s_mov_b32 s27, s3
	s_mul_i32 s31, s31, s23
	s_mul_u64 s[26:27], s[24:25], s[26:27]
	s_mul_hi_u32 s25, s23, s31
	s_ashr_i32 s26, s22, 31
	s_add_co_i32 s22, s23, s25
	s_mul_i32 s23, s27, s21
	s_ashr_i32 s30, s29, 31
	s_mul_i32 s29, s29, s10
	s_sub_co_i32 s23, s24, s23
	s_sub_co_i32 s52, s20, s29
	;; [unrolled: 1-line block ×3, first 2 shown]
	s_cmp_ge_u32 s23, s21
	s_load_b64 s[34:35], s[0:1], 0x108
	s_cselect_b32 s20, s20, s23
	s_mov_b32 s50, s10
	s_sub_co_i32 s23, s20, s21
	s_cmp_ge_u32 s20, s21
	s_mov_b32 s62, s11
	s_cselect_b32 s20, s23, s20
	s_mov_b32 s23, s3
	s_xor_b32 s24, s20, s30
	s_mul_u64 s[20:21], s[2:3], s[22:23]
	s_sub_co_i32 s54, s24, s30
	s_mul_i32 s20, s21, s7
	s_xor_b32 s37, s28, s26
	s_sub_co_i32 s2, s2, s20
	s_load_b128 s[28:31], s[0:1], 0xf8
	s_add_co_i32 s20, s21, 1
	s_sub_co_i32 s22, s2, s7
	s_cmp_ge_u32 s2, s7
	s_mov_b32 s10, s12
	s_cselect_b32 s36, s20, s21
	s_cselect_b32 s2, s22, s2
	s_add_co_i32 s38, s36, 1
	s_cmp_ge_u32 s2, s7
	s_load_b256 s[20:27], s[0:1], 0x0
	s_cselect_b32 s2, s38, s36
	s_wait_kmcnt 0x0
	s_mul_i32 s36, s35, s8
	s_xor_b32 s2, s2, s37
	s_ashr_i32 s55, s54, 31
	s_ashr_i32 s63, s11, 31
	;; [unrolled: 1-line block ×3, first 2 shown]
	s_sub_co_i32 s58, s2, s37
	s_mul_u64 s[50:51], s[54:55], s[50:51]
	s_ashr_i32 s37, s36, 31
	s_ashr_i32 s53, s52, 31
	s_mul_u64 s[62:63], s[10:11], s[62:63]
	s_ashr_i32 s59, s58, 31
	s_ashr_i32 s43, s8, 31
	s_mov_b32 s42, s8
	s_add_nc_u64 s[64:65], s[50:51], s[52:53]
	s_mul_u64 s[62:63], s[62:63], s[36:37]
	s_mul_i32 s60, s35, s9
	s_mul_u64 s[46:47], s[58:59], s[42:43]
	s_mul_u64 s[62:63], s[62:63], s[64:65]
	s_ashr_i32 s39, s4, 31
	s_ashr_i32 s41, s5, 31
	;; [unrolled: 1-line block ×8, first 2 shown]
	s_lshl_b64 s[66:67], s[62:63], 2
	s_lshl_b64 s[68:69], s[46:47], 2
	s_cmp_lt_i32 s30, 1
	s_mul_i32 s2, s52, s13
	s_cselect_b32 s11, -1, 0
	s_sub_co_i32 s19, s2, s19
	s_cmp_gt_i32 s31, 0
	s_load_b32 s57, s[0:1], 0x11c
	s_cselect_b32 s42, -1, 0
	s_cmp_gt_i32 s34, 0
	s_wait_xcnt 0x0
	s_load_b64 s[0:1], s[0:1], 0x20
	s_cselect_b32 s62, -1, 0
	s_cmp_gt_i32 s9, 0
	v_cmp_neq_f64_e64 s13, s[24:25], 1.0
	s_cselect_b32 s63, -1, 0
	s_abs_i32 s64, s8
	v_cmp_neq_f64_e64 s70, s[26:27], 0
	s_cvt_f32_u32 s2, s64
	s_abs_i32 s65, s12
	s_mov_b32 s38, s4
	s_mov_b32 s40, s5
	v_rcp_iflag_f32_e32 v1, s2
	s_cvt_f32_u32 s2, s65
	v_cvt_i32_f64_e32 v22, s[26:27]
	s_mov_b32 s44, s9
	s_mov_b32 s48, s30
	s_mul_u64 s[52:53], s[58:59], s[44:45]
	s_mov_b32 s50, s31
	v_readfirstlane_b32 s4, v1
	v_rcp_iflag_f32_e32 v1, s2
	s_wait_kmcnt 0x0
	s_add_nc_u64 s[0:1], s[0:1], s[66:67]
	s_abs_i32 s66, s56
	s_mul_u64 s[30:31], s[34:35], s[44:45]
	s_mul_f32 s2, s4, 0x4f7ffffe
	s_add_nc_u64 s[4:5], s[0:1], s[68:69]
	s_cvt_f32_u32 s12, s66
	v_nop
	v_readfirstlane_b32 s1, v1
	v_cvt_i32_f64_e32 v1, s[24:25]
	s_cvt_u32_f32 s0, s2
	v_rcp_iflag_f32_e32 v2, s12
	s_sub_co_i32 s2, 0, s64
	s_mul_f32 s1, s1, 0x4f7ffffe
	s_mul_i32 s2, s2, s0
	s_sub_co_i32 s25, 0, s66
	s_mul_hi_u32 s2, s0, s2
	v_mov_b32_e32 v3, 0
	s_add_co_i32 s12, s0, s2
	s_cvt_u32_f32 s0, s1
	s_or_b32 s67, s13, s70
	v_readfirstlane_b32 s13, v2
	s_sub_co_i32 s2, 0, s65
	s_add_nc_u64 s[20:21], s[20:21], s[52:53]
	s_mul_i32 s2, s2, s0
	s_mul_u64 s[52:53], s[30:31], s[50:51]
	s_mul_f32 s1, s13, 0x4f7ffffe
	s_mul_hi_u32 s2, s0, s2
	s_and_b32 s68, s57, 0xffff
	s_add_co_i32 s24, s0, s2
	s_cvt_u32_f32 s1, s1
	s_mov_b32 s13, s3
	s_ashr_i32 s69, s56, 31
	s_mov_b32 s27, s3
	s_mul_i32 s0, s25, s1
	s_mov_b32 s25, s3
	s_mul_hi_u32 s0, s1, s0
	s_mul_u64 s[54:55], s[38:39], s[54:55]
	s_add_co_i32 s26, s1, s0
	s_mul_u64 s[56:57], s[52:53], s[48:49]
	s_mov_b32 s35, 0
	s_branch .LBB64_3
.LBB64_2:                               ;   in Loop: Header=BB64_3 Depth=1
	v_add_nc_u32_e32 v0, s68, v0
	s_delay_alu instid0(VALU_DEP_1)
	v_cmp_le_i32_e32 vcc_lo, s33, v0
	s_or_b32 s35, vcc_lo, s35
	s_wait_xcnt 0x0
	s_and_not1_b32 exec_lo, exec_lo, s35
	s_cbranch_execz .LBB64_23
.LBB64_3:                               ; =>This Loop Header: Depth=1
                                        ;     Child Loop BB64_8 Depth 2
                                        ;       Child Loop BB64_11 Depth 3
                                        ;         Child Loop BB64_14 Depth 4
                                        ;           Child Loop BB64_17 Depth 5
	v_sub_nc_u32_e32 v2, 0, v0
	s_mov_b32 s39, -1
	s_delay_alu instid0(VALU_DEP_1) | instskip(NEXT) | instid1(VALU_DEP_1)
	v_dual_ashrrev_i32 v8, 31, v0 :: v_dual_max_i32 v2, v0, v2
	v_mul_u64_e32 v[4:5], s[12:13], v[2:3]
	s_delay_alu instid0(VALU_DEP_1) | instskip(NEXT) | instid1(VALU_DEP_1)
	v_mul_lo_u32 v4, v5, s64
	v_dual_add_nc_u32 v6, 1, v5 :: v_dual_sub_nc_u32 v4, v2, v4
	s_delay_alu instid0(VALU_DEP_1) | instskip(NEXT) | instid1(VALU_DEP_2)
	v_cmp_le_u32_e32 vcc_lo, s64, v4
	v_cndmask_b32_e32 v5, v5, v6, vcc_lo
	v_subrev_nc_u32_e32 v7, s64, v4
	s_delay_alu instid0(VALU_DEP_1) | instskip(NEXT) | instid1(VALU_DEP_1)
	v_dual_add_nc_u32 v6, 1, v5 :: v_dual_cndmask_b32 v4, v4, v7, vcc_lo
	v_cmp_le_u32_e32 vcc_lo, s64, v4
	s_delay_alu instid0(VALU_DEP_2) | instskip(NEXT) | instid1(VALU_DEP_1)
	v_dual_cndmask_b32 v4, v5, v6, vcc_lo :: v_dual_bitop2_b32 v7, s43, v8 bitop3:0x14
	v_dual_mov_b32 v5, v3 :: v_dual_bitop2_b32 v4, v4, v7 bitop3:0x14
	s_delay_alu instid0(VALU_DEP_1) | instskip(SKIP_1) | instid1(VALU_DEP_1)
	v_sub_nc_u32_e32 v9, v4, v7
	v_mul_u64_e32 v[6:7], s[26:27], v[2:3]
	v_mul_lo_u32 v6, v7, s66
	s_delay_alu instid0(VALU_DEP_3) | instskip(NEXT) | instid1(VALU_DEP_1)
	v_sub_nc_u32_e32 v4, 0, v9
	v_max_i32_e32 v4, v9, v4
	s_delay_alu instid0(VALU_DEP_1) | instskip(NEXT) | instid1(VALU_DEP_1)
	v_mul_u64_e32 v[10:11], s[24:25], v[4:5]
	v_mul_lo_u32 v5, v11, s65
	s_delay_alu instid0(VALU_DEP_1) | instskip(SKIP_1) | instid1(VALU_DEP_2)
	v_dual_sub_nc_u32 v4, v4, v5 :: v_dual_sub_nc_u32 v5, v2, v6
	v_mul_lo_u32 v6, v9, s8
	v_subrev_nc_u32_e32 v2, s65, v4
	s_delay_alu instid0(VALU_DEP_3) | instskip(SKIP_2) | instid1(VALU_DEP_4)
	v_subrev_nc_u32_e32 v10, s66, v5
	v_cmp_le_u32_e32 vcc_lo, s65, v4
	v_cmp_le_u32_e64 s1, s66, v5
	v_cndmask_b32_e32 v2, v4, v2, vcc_lo
	s_delay_alu instid0(VALU_DEP_2) | instskip(SKIP_2) | instid1(VALU_DEP_3)
	v_cndmask_b32_e64 v5, v5, v10, s1
	v_sub_nc_u32_e32 v4, v0, v6
	s_and_not1_b32 vcc_lo, exec_lo, s11
	v_cmp_le_u32_e64 s0, s65, v2
	s_delay_alu instid0(VALU_DEP_3)
	v_cmp_le_u32_e64 s2, s66, v5
	s_cbranch_vccnz .LBB64_5
; %bb.4:                                ;   in Loop: Header=BB64_3 Depth=1
	v_ashrrev_i32_e32 v5, 31, v4
	s_mov_b32 s39, 0
.LBB64_5:                               ;   in Loop: Header=BB64_3 Depth=1
	v_dual_add_nc_u32 v6, 1, v7 :: v_dual_ashrrev_i32 v9, 31, v9
	s_and_not1_b32 vcc_lo, exec_lo, s39
	v_dual_mov_b32 v23, 0 :: v_dual_bitop2_b32 v8, s69, v8 bitop3:0x14
	s_delay_alu instid0(VALU_DEP_2) | instskip(SKIP_1) | instid1(VALU_DEP_1)
	v_cndmask_b32_e64 v6, v7, v6, s1
	v_subrev_nc_u32_e32 v7, s65, v2
	v_dual_add_nc_u32 v10, 1, v6 :: v_dual_cndmask_b32 v2, v2, v7, s0
	s_delay_alu instid0(VALU_DEP_1) | instskip(NEXT) | instid1(VALU_DEP_2)
	v_cndmask_b32_e64 v6, v6, v10, s2
	v_xor_b32_e32 v2, v2, v9
	s_delay_alu instid0(VALU_DEP_2) | instskip(NEXT) | instid1(VALU_DEP_1)
	v_xor_b32_e32 v7, v6, v8
	v_dual_sub_nc_u32 v6, v2, v9 :: v_dual_sub_nc_u32 v24, v7, v8
	s_cbranch_vccnz .LBB64_19
; %bb.6:                                ;   in Loop: Header=BB64_3 Depth=1
	v_dual_ashrrev_i32 v5, 31, v4 :: v_dual_mov_b32 v23, 0
	s_delay_alu instid0(VALU_DEP_2) | instskip(SKIP_2) | instid1(VALU_DEP_2)
	v_mul_lo_u32 v7, v24, s14
	s_mov_b32 s1, 0
	s_mov_b32 s2, s19
	v_add_nc_u64_e32 v[10:11], s[46:47], v[4:5]
	s_delay_alu instid0(VALU_DEP_1) | instskip(NEXT) | instid1(VALU_DEP_3)
	v_mad_nc_u64_u32 v[8:9], s56, v10, s[22:23]
	v_subrev_nc_u32_e32 v7, s28, v7
	s_delay_alu instid0(VALU_DEP_2) | instskip(SKIP_1) | instid1(VALU_DEP_2)
	v_mad_u32 v2, s57, v10, v9
	v_mul_lo_u32 v10, v6, s15
	v_mad_u32 v9, s56, v11, v2
	s_delay_alu instid0(VALU_DEP_2)
	v_subrev_nc_u32_e32 v25, s29, v10
	s_branch .LBB64_8
.LBB64_7:                               ;   in Loop: Header=BB64_8 Depth=2
	s_delay_alu instid0(VALU_DEP_1)
	v_add_nc_u64_e32 v[8:9], s[52:53], v[8:9]
	s_add_co_i32 s1, s1, 1
	s_add_co_i32 s2, s2, s16
	s_cmp_eq_u32 s1, s48
	s_cbranch_scc1 .LBB64_19
.LBB64_8:                               ;   Parent Loop BB64_3 Depth=1
                                        ; =>  This Loop Header: Depth=2
                                        ;       Child Loop BB64_11 Depth 3
                                        ;         Child Loop BB64_14 Depth 4
                                        ;           Child Loop BB64_17 Depth 5
	s_and_not1_b32 vcc_lo, exec_lo, s42
	s_cbranch_vccnz .LBB64_7
; %bb.9:                                ;   in Loop: Header=BB64_8 Depth=2
	s_mul_i32 s0, s1, s16
	s_delay_alu instid0(VALU_DEP_1)
	v_mov_b64_e32 v[10:11], v[8:9]
	s_add_co_i32 s0, s0, s19
	v_mov_b32_e32 v12, v7
	s_cmp_lt_i32 s0, 0
	s_add_nc_u64 s[58:59], s[54:55], s[2:3]
	s_cselect_b32 s49, -1, 0
	s_cmp_ge_i32 s0, s38
	s_mul_u64 s[58:59], s[40:41], s[58:59]
	s_cselect_b32 s0, -1, 0
	s_mov_b32 s39, 0
	s_or_b32 s49, s49, s0
	s_branch .LBB64_11
.LBB64_10:                              ;   in Loop: Header=BB64_11 Depth=3
	v_add_nc_u64_e32 v[10:11], s[30:31], v[10:11]
	v_add_nc_u32_e32 v12, s17, v12
	s_add_co_i32 s39, s39, 1
	s_delay_alu instid0(SALU_CYCLE_1)
	s_cmp_eq_u32 s39, s50
	s_cbranch_scc1 .LBB64_7
.LBB64_11:                              ;   Parent Loop BB64_3 Depth=1
                                        ;     Parent Loop BB64_8 Depth=2
                                        ; =>    This Loop Header: Depth=3
                                        ;         Child Loop BB64_14 Depth 4
                                        ;           Child Loop BB64_17 Depth 5
	s_and_not1_b32 vcc_lo, exec_lo, s62
	s_cbranch_vccnz .LBB64_10
; %bb.12:                               ;   in Loop: Header=BB64_11 Depth=3
	v_mad_u32 v2, s39, s17, v7
	v_mov_b32_e32 v13, v3
	v_mov_b64_e32 v[16:17], v[10:11]
	s_mov_b32 s51, 0
	s_delay_alu instid0(VALU_DEP_3) | instskip(SKIP_4) | instid1(SALU_CYCLE_1)
	v_cmp_gt_i32_e32 vcc_lo, 0, v2
	v_cmp_le_i32_e64 s0, s40, v2
	v_mov_b32_e32 v2, v25
	v_add_nc_u64_e32 v[14:15], s[58:59], v[12:13]
	s_or_b32 s0, vcc_lo, s0
	s_or_b32 s70, s49, s0
	s_delay_alu instid0(VALU_DEP_1)
	v_mul_u64_e32 v[14:15], s[6:7], v[14:15]
	s_branch .LBB64_14
.LBB64_13:                              ;   in Loop: Header=BB64_14 Depth=4
	v_add_nc_u64_e32 v[16:17], s[44:45], v[16:17]
	v_add_nc_u32_e32 v2, s18, v2
	s_add_co_i32 s51, s51, 1
	s_delay_alu instid0(SALU_CYCLE_1)
	s_cmp_eq_u32 s51, s34
	s_cbranch_scc1 .LBB64_10
.LBB64_14:                              ;   Parent Loop BB64_3 Depth=1
                                        ;     Parent Loop BB64_8 Depth=2
                                        ;       Parent Loop BB64_11 Depth=3
                                        ; =>      This Loop Header: Depth=4
                                        ;           Child Loop BB64_17 Depth 5
	s_and_not1_b32 vcc_lo, exec_lo, s63
	s_cbranch_vccnz .LBB64_13
; %bb.15:                               ;   in Loop: Header=BB64_14 Depth=4
	s_delay_alu instid0(VALU_DEP_1) | instskip(SKIP_2) | instid1(VALU_DEP_2)
	v_add_nc_u64_e32 v[20:21], v[14:15], v[2:3]
	v_mad_u32 v13, s51, s18, v25
	s_mov_b32 s71, s9
	v_mad_nc_u64_u32 v[18:19], s60, v20, s[20:21]
	s_delay_alu instid0(VALU_DEP_2) | instskip(SKIP_4) | instid1(VALU_DEP_1)
	v_cmp_gt_i32_e32 vcc_lo, 0, v13
	v_cmp_le_i32_e64 s0, s6, v13
	s_or_b32 s0, vcc_lo, s0
	v_mad_u32 v19, s61, v20, v19
	s_nor_b32 s0, s70, s0
	v_mad_u32 v19, s60, v21, v19
	v_mov_b64_e32 v[20:21], v[16:17]
	s_branch .LBB64_17
.LBB64_16:                              ;   in Loop: Header=BB64_17 Depth=5
	s_wait_xcnt 0x0
	s_or_b32 exec_lo, exec_lo, s72
	s_delay_alu instid0(VALU_DEP_2) | instskip(SKIP_2) | instid1(SALU_CYCLE_1)
	v_add_nc_u64_e32 v[18:19], 1, v[18:19]
	v_add_nc_u64_e32 v[20:21], 1, v[20:21]
	s_add_co_i32 s71, s71, -1
	s_cmp_eq_u32 s71, 0
	s_cbranch_scc1 .LBB64_13
.LBB64_17:                              ;   Parent Loop BB64_3 Depth=1
                                        ;     Parent Loop BB64_8 Depth=2
                                        ;       Parent Loop BB64_11 Depth=3
                                        ;         Parent Loop BB64_14 Depth=4
                                        ; =>        This Inner Loop Header: Depth=5
	s_and_saveexec_b32 s72, s0
	s_cbranch_execz .LBB64_16
; %bb.18:                               ;   in Loop: Header=BB64_17 Depth=5
	global_load_i8 v13, v[18:19], off
	global_load_i8 v26, v[20:21], off
	s_wait_loadcnt 0x0
	v_mad_i32_i24 v23, v26, v13, v23
	s_branch .LBB64_16
.LBB64_19:                              ;   in Loop: Header=BB64_3 Depth=1
	s_delay_alu instid0(VALU_DEP_1) | instskip(SKIP_2) | instid1(VALU_DEP_1)
	v_ashrrev_i32_e32 v7, 31, v6
	s_and_b32 vcc_lo, exec_lo, s67
	s_mov_b32 s0, -1
	v_mad_nc_i64_i32 v[6:7], v24, s10, v[6:7]
	s_delay_alu instid0(VALU_DEP_1) | instskip(NEXT) | instid1(VALU_DEP_1)
	v_mad_nc_u64_u32 v[4:5], v6, s36, v[4:5]
	v_mad_u32 v2, v7, s36, v5
	s_delay_alu instid0(VALU_DEP_1)
	v_mad_u32 v5, v6, s37, v2
	s_cbranch_vccz .LBB64_21
; %bb.20:                               ;   in Loop: Header=BB64_3 Depth=1
	s_delay_alu instid0(VALU_DEP_1)
	v_lshl_add_u64 v[6:7], v[4:5], 2, s[4:5]
	v_mul_lo_u32 v8, v23, v1
	s_mov_b32 s0, 0
	global_load_b32 v2, v[6:7], off
	s_wait_loadcnt 0x0
	v_mad_u32 v2, v2, v22, v8
	global_store_b32 v[6:7], v2, off
.LBB64_21:                              ;   in Loop: Header=BB64_3 Depth=1
	s_and_not1_b32 vcc_lo, exec_lo, s0
	s_cbranch_vccnz .LBB64_2
; %bb.22:                               ;   in Loop: Header=BB64_3 Depth=1
	s_delay_alu instid0(VALU_DEP_1)
	v_lshl_add_u64 v[4:5], v[4:5], 2, s[4:5]
	global_store_b32 v[4:5], v23, off
	s_branch .LBB64_2
.LBB64_23:
	s_endpgm
	.section	.rodata,"a",@progbits
	.p2align	6, 0x0
	.amdhsa_kernel naive_conv_ab_packed_fwd_ndhwc_int8_t_int32_t_int32_t
		.amdhsa_group_segment_fixed_size 0
		.amdhsa_private_segment_fixed_size 0
		.amdhsa_kernarg_size 528
		.amdhsa_user_sgpr_count 2
		.amdhsa_user_sgpr_dispatch_ptr 0
		.amdhsa_user_sgpr_queue_ptr 0
		.amdhsa_user_sgpr_kernarg_segment_ptr 1
		.amdhsa_user_sgpr_dispatch_id 0
		.amdhsa_user_sgpr_kernarg_preload_length 0
		.amdhsa_user_sgpr_kernarg_preload_offset 0
		.amdhsa_user_sgpr_private_segment_size 0
		.amdhsa_wavefront_size32 1
		.amdhsa_uses_dynamic_stack 0
		.amdhsa_enable_private_segment 0
		.amdhsa_system_sgpr_workgroup_id_x 1
		.amdhsa_system_sgpr_workgroup_id_y 0
		.amdhsa_system_sgpr_workgroup_id_z 0
		.amdhsa_system_sgpr_workgroup_info 0
		.amdhsa_system_vgpr_workitem_id 0
		.amdhsa_next_free_vgpr 27
		.amdhsa_next_free_sgpr 73
		.amdhsa_named_barrier_count 0
		.amdhsa_reserve_vcc 1
		.amdhsa_float_round_mode_32 0
		.amdhsa_float_round_mode_16_64 0
		.amdhsa_float_denorm_mode_32 3
		.amdhsa_float_denorm_mode_16_64 3
		.amdhsa_fp16_overflow 0
		.amdhsa_memory_ordered 1
		.amdhsa_forward_progress 1
		.amdhsa_inst_pref_size 15
		.amdhsa_round_robin_scheduling 0
		.amdhsa_exception_fp_ieee_invalid_op 0
		.amdhsa_exception_fp_denorm_src 0
		.amdhsa_exception_fp_ieee_div_zero 0
		.amdhsa_exception_fp_ieee_overflow 0
		.amdhsa_exception_fp_ieee_underflow 0
		.amdhsa_exception_fp_ieee_inexact 0
		.amdhsa_exception_int_div_zero 0
	.end_amdhsa_kernel
	.text
.Lfunc_end64:
	.size	naive_conv_ab_packed_fwd_ndhwc_int8_t_int32_t_int32_t, .Lfunc_end64-naive_conv_ab_packed_fwd_ndhwc_int8_t_int32_t_int32_t
                                        ; -- End function
	.set naive_conv_ab_packed_fwd_ndhwc_int8_t_int32_t_int32_t.num_vgpr, 27
	.set naive_conv_ab_packed_fwd_ndhwc_int8_t_int32_t_int32_t.num_agpr, 0
	.set naive_conv_ab_packed_fwd_ndhwc_int8_t_int32_t_int32_t.numbered_sgpr, 73
	.set naive_conv_ab_packed_fwd_ndhwc_int8_t_int32_t_int32_t.num_named_barrier, 0
	.set naive_conv_ab_packed_fwd_ndhwc_int8_t_int32_t_int32_t.private_seg_size, 0
	.set naive_conv_ab_packed_fwd_ndhwc_int8_t_int32_t_int32_t.uses_vcc, 1
	.set naive_conv_ab_packed_fwd_ndhwc_int8_t_int32_t_int32_t.uses_flat_scratch, 0
	.set naive_conv_ab_packed_fwd_ndhwc_int8_t_int32_t_int32_t.has_dyn_sized_stack, 0
	.set naive_conv_ab_packed_fwd_ndhwc_int8_t_int32_t_int32_t.has_recursion, 0
	.set naive_conv_ab_packed_fwd_ndhwc_int8_t_int32_t_int32_t.has_indirect_call, 0
	.section	.AMDGPU.csdata,"",@progbits
; Kernel info:
; codeLenInByte = 1916
; TotalNumSgprs: 75
; NumVgprs: 27
; ScratchSize: 0
; MemoryBound: 0
; FloatMode: 240
; IeeeMode: 1
; LDSByteSize: 0 bytes/workgroup (compile time only)
; SGPRBlocks: 0
; VGPRBlocks: 1
; NumSGPRsForWavesPerEU: 75
; NumVGPRsForWavesPerEU: 27
; NamedBarCnt: 0
; Occupancy: 16
; WaveLimiterHint : 1
; COMPUTE_PGM_RSRC2:SCRATCH_EN: 0
; COMPUTE_PGM_RSRC2:USER_SGPR: 2
; COMPUTE_PGM_RSRC2:TRAP_HANDLER: 0
; COMPUTE_PGM_RSRC2:TGID_X_EN: 1
; COMPUTE_PGM_RSRC2:TGID_Y_EN: 0
; COMPUTE_PGM_RSRC2:TGID_Z_EN: 0
; COMPUTE_PGM_RSRC2:TIDIG_COMP_CNT: 0
	.text
	.protected	naive_conv_ab_nonpacked_fwd_ndhwc_int8_t_int32_t_int32_t ; -- Begin function naive_conv_ab_nonpacked_fwd_ndhwc_int8_t_int32_t_int32_t
	.globl	naive_conv_ab_nonpacked_fwd_ndhwc_int8_t_int32_t_int32_t
	.p2align	8
	.type	naive_conv_ab_nonpacked_fwd_ndhwc_int8_t_int32_t_int32_t,@function
naive_conv_ab_nonpacked_fwd_ndhwc_int8_t_int32_t_int32_t: ; @naive_conv_ab_nonpacked_fwd_ndhwc_int8_t_int32_t_int32_t
; %bb.0:
	s_load_b512 s[4:19], s[0:1], 0xb8
	s_bfe_u32 s2, ttmp6, 0x4000c
	s_and_b32 s3, ttmp6, 15
	s_add_co_i32 s2, s2, 1
	s_getreg_b32 s20, hwreg(HW_REG_IB_STS2, 6, 4)
	s_mul_i32 s2, ttmp9, s2
	s_mov_b32 s25, exec_lo
	s_add_co_i32 s3, s3, s2
	s_cmp_eq_u32 s20, 0
	s_cselect_b32 s20, ttmp9, s3
	s_wait_kmcnt 0x0
	s_abs_i32 s3, s10
	s_mul_i32 s34, s12, s8
	s_cvt_f32_u32 s2, s3
	s_delay_alu instid0(SALU_CYCLE_3) | instskip(SKIP_1) | instid1(TRANS32_DEP_1)
	v_rcp_iflag_f32_e32 v1, s2
	v_nop
	v_readfirstlane_b32 s2, v1
	s_mul_f32 s2, s2, 0x4f7ffffe
	s_delay_alu instid0(SALU_CYCLE_3) | instskip(SKIP_1) | instid1(SALU_CYCLE_2)
	s_cvt_u32_f32 s21, s2
	s_sub_co_i32 s2, 0, s3
	s_mul_i32 s2, s2, s21
	s_delay_alu instid0(SALU_CYCLE_1) | instskip(SKIP_2) | instid1(SALU_CYCLE_1)
	s_mul_hi_u32 s22, s21, s2
	s_abs_i32 s2, s20
	s_add_co_i32 s21, s21, s22
	s_mul_hi_u32 s21, s2, s21
	s_delay_alu instid0(SALU_CYCLE_1) | instskip(SKIP_2) | instid1(SALU_CYCLE_1)
	s_mul_i32 s22, s21, s3
	s_add_co_i32 s23, s21, 1
	s_sub_co_i32 s22, s2, s22
	s_sub_co_i32 s24, s22, s3
	s_cmp_ge_u32 s22, s3
	s_cselect_b32 s21, s23, s21
	s_cselect_b32 s22, s24, s22
	s_add_co_i32 s23, s21, 1
	s_cmp_ge_u32 s22, s3
	s_mul_i32 s22, s10, s7
	s_cselect_b32 s23, s23, s21
	s_abs_i32 s21, s7
	s_abs_i32 s33, s22
	s_cvt_f32_u32 s3, s21
	s_cvt_f32_u32 s7, s33
	s_delay_alu instid0(SALU_CYCLE_2) | instskip(NEXT) | instid1(SALU_CYCLE_2)
	v_rcp_iflag_f32_e32 v1, s3
	v_rcp_iflag_f32_e32 v2, s7
	s_mul_i32 s7, s34, s11
	s_mov_b32 s3, 0
	s_delay_alu instid0(TRANS32_DEP_2) | instskip(NEXT) | instid1(TRANS32_DEP_1)
	v_readfirstlane_b32 s24, v1
	v_readfirstlane_b32 s11, v2
	v_cmpx_gt_i32_e64 s7, v0
	s_cbranch_execz .LBB65_23
; %bb.1:
	s_mul_f32 s24, s24, 0x4f7ffffe
	s_ashr_i32 s35, s20, 31
	s_ashr_i32 s25, s10, 31
	s_mul_f32 s11, s11, 0x4f7ffffe
	s_cvt_u32_f32 s26, s24
	s_xor_b32 s25, s35, s25
	s_sub_co_i32 s24, 0, s21
	s_xor_b32 s23, s23, s25
	s_mul_i32 s24, s24, s26
	s_cvt_u32_f32 s11, s11
	s_sub_co_i32 s23, s23, s25
	s_mul_hi_u32 s25, s26, s24
	s_sub_co_i32 s28, 0, s33
	s_abs_i32 s24, s23
	s_add_co_i32 s26, s26, s25
	s_mov_b32 s25, s3
	s_mov_b32 s27, s3
	s_mul_i32 s28, s28, s11
	s_mul_u64 s[26:27], s[24:25], s[26:27]
	s_mul_hi_u32 s25, s11, s28
	s_ashr_i32 s26, s22, 31
	s_add_co_i32 s22, s11, s25
	s_mul_i32 s11, s27, s21
	s_ashr_i32 s58, s23, 31
	s_mul_i32 s23, s23, s10
	s_sub_co_i32 s11, s24, s11
	s_sub_co_i32 s10, s20, s23
	;; [unrolled: 1-line block ×3, first 2 shown]
	s_cmp_ge_u32 s11, s21
	s_mov_b32 s23, s3
	s_cselect_b32 s11, s20, s11
	s_mul_u64 s[56:57], s[2:3], s[22:23]
	s_sub_co_i32 s20, s11, s21
	s_cmp_ge_u32 s11, s21
	s_load_b512 s[36:51], s[0:1], 0x68
	s_cselect_b32 s11, s20, s11
	s_clause 0x1
	s_load_b128 s[28:31], s[0:1], 0xf8
	s_load_b128 s[52:55], s[0:1], 0xa8
	s_xor_b32 s11, s11, s58
	s_xor_b32 s35, s35, s26
	s_sub_co_i32 s72, s11, s58
	s_mul_i32 s11, s57, s33
	s_load_b256 s[20:27], s[0:1], 0x0
	s_sub_co_i32 s2, s2, s11
	s_add_co_i32 s11, s57, 1
	s_sub_co_i32 s56, s2, s33
	s_cmp_ge_u32 s2, s33
	s_load_b64 s[74:75], s[0:1], 0x20
	s_cselect_b32 s11, s11, s57
	s_cselect_b32 s2, s56, s2
	s_add_co_i32 s56, s11, 1
	s_cmp_ge_u32 s2, s33
	s_load_b32 s33, s[0:1], 0x108
	s_cselect_b32 s2, s56, s11
	s_ashr_i32 s73, s72, 31
	s_xor_b32 s2, s2, s35
	s_ashr_i32 s11, s10, 31
	s_sub_co_i32 s76, s2, s35
	s_wait_kmcnt 0x0
	s_mul_u64 s[54:55], s[54:55], s[72:73]
	s_ashr_i32 s77, s76, 31
	s_mul_u64 s[52:53], s[52:53], s[10:11]
	s_mul_u64 s[46:47], s[46:47], s[76:77]
	s_lshl_b64 s[78:79], s[54:55], 2
	s_lshl_b64 s[80:81], s[52:53], 2
	;; [unrolled: 1-line block ×3, first 2 shown]
	s_cmp_lt_i32 s30, 1
	s_load_b512 s[52:67], s[0:1], 0x28
	s_mul_i32 s2, s10, s13
	v_cmp_neq_f64_e64 s13, s[24:25], 1.0
	v_cmp_neq_f64_e64 s35, s[26:27], 0
	s_cselect_b32 s46, -1, 0
	s_sub_co_i32 s19, s2, s19
	s_cmp_gt_i32 s31, 0
	s_load_b32 s2, s[0:1], 0x11c
	s_cselect_b32 s47, -1, 0
	s_cmp_gt_i32 s33, 0
	s_add_nc_u64 s[10:11], s[74:75], s[78:79]
	s_cselect_b32 s68, -1, 0
	s_cmp_gt_i32 s9, 0
	s_mul_u64 s[74:75], s[42:43], s[76:77]
	s_cselect_b32 s69, -1, 0
	s_abs_i32 s70, s8
	s_abs_i32 s42, s34
	s_wait_xcnt 0x0
	s_cvt_f32_u32 s0, s70
	v_cvt_i32_f64_e32 v18, s[24:25]
	v_cvt_i32_f64_e32 v19, s[26:27]
	s_sub_co_i32 s24, 0, s70
	v_rcp_iflag_f32_e32 v1, s0
	s_wait_kmcnt 0x0
	s_mul_u64 s[0:1], s[62:63], s[72:73]
	s_mul_u64 s[72:73], s[54:55], s[76:77]
	s_abs_i32 s54, s12
	v_mov_b32_e32 v3, 0
	s_cvt_f32_u32 s12, s54
	s_sub_co_i32 s25, 0, s54
	v_readfirstlane_b32 s55, v1
	s_add_nc_u64 s[10:11], s[10:11], s[80:81]
	v_rcp_iflag_f32_e32 v1, s12
	s_add_nc_u64 s[0:1], s[72:73], s[0:1]
	s_add_nc_u64 s[10:11], s[10:11], s[82:83]
	s_mul_f32 s12, s55, 0x4f7ffffe
	s_cvt_f32_u32 s55, s42
	s_or_b32 s43, s13, s35
	s_ashr_i32 s62, s8, 31
	v_nop
	v_readfirstlane_b32 s13, v1
	v_rcp_iflag_f32_e32 v2, s55
	s_cvt_u32_f32 s12, s12
	s_and_b32 s55, s2, 0xffff
	s_ashr_i32 s63, s34, 31
	s_mul_f32 s2, s13, 0x4f7ffffe
	s_mul_i32 s24, s24, s12
	s_mov_b32 s27, s3
	v_nop
	v_readfirstlane_b32 s13, v2
	s_mul_hi_u32 s24, s12, s24
	s_cvt_u32_f32 s2, s2
	s_add_co_i32 s12, s12, s24
	s_add_nc_u64 s[22:23], s[22:23], s[74:75]
	s_mul_f32 s24, s13, 0x4f7ffffe
	s_mul_i32 s25, s25, s2
	s_mov_b32 s13, s3
	s_add_nc_u64 s[20:21], s[20:21], s[0:1]
	s_cvt_u32_f32 s26, s24
	s_mul_hi_u32 s24, s2, s25
	s_sub_co_i32 s25, 0, s42
	s_add_co_i32 s24, s2, s24
	s_mul_i32 s2, s25, s26
	s_mov_b32 s25, s3
	s_mul_hi_u32 s2, s26, s2
	s_mov_b32 s71, 0
	s_add_co_i32 s26, s26, s2
	s_branch .LBB65_3
.LBB65_2:                               ;   in Loop: Header=BB65_3 Depth=1
	v_add_nc_u32_e32 v0, s55, v0
	s_delay_alu instid0(VALU_DEP_1)
	v_cmp_le_i32_e32 vcc_lo, s7, v0
	s_or_b32 s71, vcc_lo, s71
	s_wait_xcnt 0x0
	s_and_not1_b32 exec_lo, exec_lo, s71
	s_cbranch_execz .LBB65_23
.LBB65_3:                               ; =>This Loop Header: Depth=1
                                        ;     Child Loop BB65_8 Depth 2
                                        ;       Child Loop BB65_11 Depth 3
                                        ;         Child Loop BB65_14 Depth 4
                                        ;           Child Loop BB65_17 Depth 5
	v_sub_nc_u32_e32 v1, 0, v0
	s_mov_b32 s34, -1
	v_dual_mov_b32 v9, v3 :: v_dual_ashrrev_i32 v6, 31, v0
	s_delay_alu instid0(VALU_DEP_2) | instskip(NEXT) | instid1(VALU_DEP_1)
	v_max_i32_e32 v2, v0, v1
	v_mul_u64_e32 v[4:5], s[12:13], v[2:3]
	s_delay_alu instid0(VALU_DEP_1) | instskip(SKIP_1) | instid1(VALU_DEP_2)
	v_mul_lo_u32 v1, v5, s70
	v_add_nc_u32_e32 v4, 1, v5
	v_sub_nc_u32_e32 v1, v2, v1
	s_delay_alu instid0(VALU_DEP_1) | instskip(SKIP_1) | instid1(VALU_DEP_4)
	v_subrev_nc_u32_e32 v7, s70, v1
	v_cmp_le_u32_e32 vcc_lo, s70, v1
	v_cndmask_b32_e32 v4, v5, v4, vcc_lo
	s_delay_alu instid0(VALU_DEP_1) | instskip(NEXT) | instid1(VALU_DEP_1)
	v_dual_cndmask_b32 v1, v1, v7, vcc_lo :: v_dual_add_nc_u32 v5, 1, v4
	v_cmp_le_u32_e32 vcc_lo, s70, v1
	s_delay_alu instid0(VALU_DEP_2) | instskip(SKIP_1) | instid1(VALU_DEP_2)
	v_dual_cndmask_b32 v1, v4, v5, vcc_lo :: v_dual_bitop2_b32 v7, s62, v6 bitop3:0x14
	v_mul_u64_e32 v[4:5], s[26:27], v[2:3]
	v_xor_b32_e32 v1, v1, v7
	s_delay_alu instid0(VALU_DEP_1) | instskip(NEXT) | instid1(VALU_DEP_3)
	v_sub_nc_u32_e32 v7, v1, v7
	v_mul_lo_u32 v4, v5, s42
	s_delay_alu instid0(VALU_DEP_1) | instskip(NEXT) | instid1(VALU_DEP_1)
	v_dual_sub_nc_u32 v1, 0, v7 :: v_dual_sub_nc_u32 v2, v2, v4
	v_max_i32_e32 v8, v7, v1
	s_delay_alu instid0(VALU_DEP_2) | instskip(NEXT) | instid1(VALU_DEP_2)
	v_cmp_le_u32_e64 s1, s42, v2
	v_mul_u64_e32 v[10:11], s[24:25], v[8:9]
	v_subrev_nc_u32_e32 v9, s42, v2
	s_delay_alu instid0(VALU_DEP_2) | instskip(NEXT) | instid1(VALU_DEP_1)
	v_mul_lo_u32 v1, v11, s54
	v_sub_nc_u32_e32 v1, v8, v1
	v_mul_lo_u32 v8, v7, s8
	s_delay_alu instid0(VALU_DEP_2) | instskip(SKIP_1) | instid1(VALU_DEP_2)
	v_subrev_nc_u32_e32 v4, s54, v1
	v_cmp_le_u32_e32 vcc_lo, s54, v1
	v_dual_cndmask_b32 v4, v1, v4, vcc_lo :: v_dual_cndmask_b32 v1, v2, v9, s1
	s_delay_alu instid0(VALU_DEP_4) | instskip(SKIP_1) | instid1(VALU_DEP_2)
	v_sub_nc_u32_e32 v2, v0, v8
	s_and_not1_b32 vcc_lo, exec_lo, s46
	v_cmp_le_u32_e64 s0, s54, v4
	s_delay_alu instid0(VALU_DEP_3)
	v_cmp_le_u32_e64 s2, s42, v1
                                        ; implicit-def: $vgpr1
	s_cbranch_vccnz .LBB65_5
; %bb.4:                                ;   in Loop: Header=BB65_3 Depth=1
	v_ashrrev_i32_e32 v1, 31, v2
	s_mov_b32 s34, 0
.LBB65_5:                               ;   in Loop: Header=BB65_3 Depth=1
	v_add_nc_u32_e32 v8, 1, v5
	s_and_not1_b32 vcc_lo, exec_lo, s34
	v_dual_mov_b32 v20, 0 :: v_dual_ashrrev_i32 v7, 31, v7
	s_delay_alu instid0(VALU_DEP_2) | instskip(SKIP_1) | instid1(VALU_DEP_2)
	v_cndmask_b32_e64 v5, v5, v8, s1
	v_subrev_nc_u32_e32 v8, s54, v4
	v_dual_add_nc_u32 v9, 1, v5 :: v_dual_bitop2_b32 v6, s63, v6 bitop3:0x14
	s_delay_alu instid0(VALU_DEP_1) | instskip(NEXT) | instid1(VALU_DEP_1)
	v_dual_cndmask_b32 v4, v4, v8, s0 :: v_dual_cndmask_b32 v5, v5, v9, s2
	v_xor_b32_e32 v4, v4, v7
	s_delay_alu instid0(VALU_DEP_1) | instskip(NEXT) | instid1(VALU_DEP_1)
	v_dual_sub_nc_u32 v4, v4, v7 :: v_dual_bitop2_b32 v5, v5, v6 bitop3:0x14
	v_sub_nc_u32_e32 v21, v5, v6
	s_cbranch_vccnz .LBB65_19
; %bb.6:                                ;   in Loop: Header=BB65_3 Depth=1
	v_mad_nc_u64_u32 v[6:7], s40, v2, s[22:23]
	s_delay_alu instid0(VALU_DEP_2) | instskip(SKIP_4) | instid1(VALU_DEP_4)
	v_mul_lo_u32 v8, v21, s14
	v_mul_lo_u32 v9, v4, s15
	v_dual_mov_b32 v20, 0 :: v_dual_ashrrev_i32 v1, 31, v2
	s_mov_b32 s1, 0
	s_mov_b32 s2, s19
	v_mad_u32 v5, s41, v2, v7
	s_delay_alu instid0(VALU_DEP_3) | instskip(NEXT) | instid1(VALU_DEP_2)
	v_subrev_nc_u32_e32 v22, s29, v9
	v_mad_u32 v7, s40, v1, v5
	v_subrev_nc_u32_e32 v5, s28, v8
	s_branch .LBB65_8
.LBB65_7:                               ;   in Loop: Header=BB65_8 Depth=2
	s_delay_alu instid0(VALU_DEP_1)
	v_add_nc_u64_e32 v[6:7], s[38:39], v[6:7]
	s_add_co_i32 s1, s1, 1
	s_add_co_i32 s2, s2, s16
	s_cmp_eq_u32 s1, s30
	s_cbranch_scc1 .LBB65_19
.LBB65_8:                               ;   Parent Loop BB65_3 Depth=1
                                        ; =>  This Loop Header: Depth=2
                                        ;       Child Loop BB65_11 Depth 3
                                        ;         Child Loop BB65_14 Depth 4
                                        ;           Child Loop BB65_17 Depth 5
	s_and_not1_b32 vcc_lo, exec_lo, s47
	s_cbranch_vccnz .LBB65_7
; %bb.9:                                ;   in Loop: Header=BB65_8 Depth=2
	s_mul_i32 s0, s1, s16
	s_delay_alu instid0(VALU_DEP_1)
	v_mov_b64_e32 v[8:9], v[6:7]
	s_add_co_i32 s0, s0, s19
	v_mov_b32_e32 v23, v5
	s_cmp_lt_i32 s0, 0
	s_mul_u64 s[34:35], s[60:61], s[2:3]
	s_cselect_b32 s73, -1, 0
	s_cmp_ge_i32 s0, s4
	s_mov_b32 s72, 0
	s_cselect_b32 s0, -1, 0
	s_add_nc_u64 s[34:35], s[20:21], s[34:35]
	s_or_b32 s73, s73, s0
	s_branch .LBB65_11
.LBB65_10:                              ;   in Loop: Header=BB65_11 Depth=3
	v_add_nc_u64_e32 v[8:9], s[36:37], v[8:9]
	v_add_nc_u32_e32 v23, s17, v23
	s_add_co_i32 s72, s72, 1
	s_delay_alu instid0(SALU_CYCLE_1)
	s_cmp_eq_u32 s72, s31
	s_cbranch_scc1 .LBB65_7
.LBB65_11:                              ;   Parent Loop BB65_3 Depth=1
                                        ;     Parent Loop BB65_8 Depth=2
                                        ; =>    This Loop Header: Depth=3
                                        ;         Child Loop BB65_14 Depth 4
                                        ;           Child Loop BB65_17 Depth 5
	s_and_not1_b32 vcc_lo, exec_lo, s68
	s_cbranch_vccnz .LBB65_10
; %bb.12:                               ;   in Loop: Header=BB65_11 Depth=3
	v_mad_nc_u64_u32 v[10:11], s58, v23, s[34:35]
	v_mad_u32 v12, s72, s17, v5
	v_mov_b32_e32 v24, v22
	s_mov_b32 s74, 0
	s_delay_alu instid0(VALU_DEP_3) | instskip(NEXT) | instid1(VALU_DEP_3)
	v_mad_u32 v11, s59, v23, v11
	v_cmp_gt_i32_e32 vcc_lo, 0, v12
	v_cmp_le_i32_e64 s0, s5, v12
	v_mov_b64_e32 v[12:13], v[8:9]
	s_or_b32 s0, vcc_lo, s0
	s_delay_alu instid0(SALU_CYCLE_1)
	s_or_b32 s75, s73, s0
	s_branch .LBB65_14
.LBB65_13:                              ;   in Loop: Header=BB65_14 Depth=4
	s_delay_alu instid0(VALU_DEP_1) | instskip(SKIP_2) | instid1(SALU_CYCLE_1)
	v_add_nc_u64_e32 v[12:13], s[66:67], v[12:13]
	v_add_nc_u32_e32 v24, s18, v24
	s_add_co_i32 s74, s74, 1
	s_cmp_eq_u32 s74, s33
	s_cbranch_scc1 .LBB65_10
.LBB65_14:                              ;   Parent Loop BB65_3 Depth=1
                                        ;     Parent Loop BB65_8 Depth=2
                                        ;       Parent Loop BB65_11 Depth=3
                                        ; =>      This Loop Header: Depth=4
                                        ;           Child Loop BB65_17 Depth 5
	s_and_not1_b32 vcc_lo, exec_lo, s69
	s_cbranch_vccnz .LBB65_13
; %bb.15:                               ;   in Loop: Header=BB65_14 Depth=4
	v_mad_nc_u64_u32 v[14:15], s56, v24, v[10:11]
	v_mad_u32 v16, s74, s18, v22
	s_mov_b32 s76, s9
	s_delay_alu instid0(VALU_DEP_2) | instskip(NEXT) | instid1(VALU_DEP_2)
	v_mad_u32 v15, s57, v24, v15
	v_cmp_gt_i32_e32 vcc_lo, 0, v16
	v_cmp_le_i32_e64 s0, s6, v16
	v_mov_b64_e32 v[16:17], v[12:13]
	s_or_b32 s0, vcc_lo, s0
	s_delay_alu instid0(SALU_CYCLE_1)
	s_nor_b32 s0, s75, s0
	s_branch .LBB65_17
.LBB65_16:                              ;   in Loop: Header=BB65_17 Depth=5
	s_wait_xcnt 0x0
	s_or_b32 exec_lo, exec_lo, s77
	v_add_nc_u64_e32 v[16:17], s[64:65], v[16:17]
	v_add_nc_u64_e32 v[14:15], s[52:53], v[14:15]
	s_add_co_i32 s76, s76, -1
	s_delay_alu instid0(SALU_CYCLE_1)
	s_cmp_eq_u32 s76, 0
	s_cbranch_scc1 .LBB65_13
.LBB65_17:                              ;   Parent Loop BB65_3 Depth=1
                                        ;     Parent Loop BB65_8 Depth=2
                                        ;       Parent Loop BB65_11 Depth=3
                                        ;         Parent Loop BB65_14 Depth=4
                                        ; =>        This Inner Loop Header: Depth=5
	s_and_saveexec_b32 s77, s0
	s_cbranch_execz .LBB65_16
; %bb.18:                               ;   in Loop: Header=BB65_17 Depth=5
	global_load_i8 v25, v[14:15], off
	global_load_i8 v26, v[16:17], off
	s_wait_loadcnt 0x0
	v_mad_i32_i24 v20, v26, v25, v20
	s_branch .LBB65_16
.LBB65_19:                              ;   in Loop: Header=BB65_3 Depth=1
	s_delay_alu instid0(VALU_DEP_1) | instskip(SKIP_2) | instid1(VALU_DEP_1)
	v_dual_ashrrev_i32 v5, 31, v4 :: v_dual_ashrrev_i32 v6, 31, v21
	s_and_b32 vcc_lo, exec_lo, s43
	s_mov_b32 s0, -1
	v_mul_u64_e32 v[4:5], s[48:49], v[4:5]
	s_delay_alu instid0(VALU_DEP_1) | instskip(NEXT) | instid1(VALU_DEP_1)
	v_mad_nc_u64_u32 v[4:5], s50, v21, v[4:5]
	v_mad_u32 v5, s51, v21, v5
	s_delay_alu instid0(VALU_DEP_1) | instskip(NEXT) | instid1(VALU_DEP_1)
	v_mad_u32 v5, s50, v6, v5
	v_mad_nc_u64_u32 v[4:5], v2, s44, v[4:5]
	s_delay_alu instid0(VALU_DEP_1) | instskip(NEXT) | instid1(VALU_DEP_1)
	v_mad_u32 v1, v1, s44, v5
	v_mad_u32 v5, v2, s45, v1
	s_cbranch_vccz .LBB65_21
; %bb.20:                               ;   in Loop: Header=BB65_3 Depth=1
	s_delay_alu instid0(VALU_DEP_1)
	v_lshl_add_u64 v[6:7], v[4:5], 2, s[10:11]
	v_mul_lo_u32 v2, v20, v18
	s_mov_b32 s0, 0
	global_load_b32 v1, v[6:7], off
	s_wait_loadcnt 0x0
	v_mad_u32 v1, v1, v19, v2
	global_store_b32 v[6:7], v1, off
.LBB65_21:                              ;   in Loop: Header=BB65_3 Depth=1
	s_and_not1_b32 vcc_lo, exec_lo, s0
	s_cbranch_vccnz .LBB65_2
; %bb.22:                               ;   in Loop: Header=BB65_3 Depth=1
	s_delay_alu instid0(VALU_DEP_1)
	v_lshl_add_u64 v[4:5], v[4:5], 2, s[10:11]
	global_store_b32 v[4:5], v20, off
	s_branch .LBB65_2
.LBB65_23:
	s_endpgm
	.section	.rodata,"a",@progbits
	.p2align	6, 0x0
	.amdhsa_kernel naive_conv_ab_nonpacked_fwd_ndhwc_int8_t_int32_t_int32_t
		.amdhsa_group_segment_fixed_size 0
		.amdhsa_private_segment_fixed_size 0
		.amdhsa_kernarg_size 528
		.amdhsa_user_sgpr_count 2
		.amdhsa_user_sgpr_dispatch_ptr 0
		.amdhsa_user_sgpr_queue_ptr 0
		.amdhsa_user_sgpr_kernarg_segment_ptr 1
		.amdhsa_user_sgpr_dispatch_id 0
		.amdhsa_user_sgpr_kernarg_preload_length 0
		.amdhsa_user_sgpr_kernarg_preload_offset 0
		.amdhsa_user_sgpr_private_segment_size 0
		.amdhsa_wavefront_size32 1
		.amdhsa_uses_dynamic_stack 0
		.amdhsa_enable_private_segment 0
		.amdhsa_system_sgpr_workgroup_id_x 1
		.amdhsa_system_sgpr_workgroup_id_y 0
		.amdhsa_system_sgpr_workgroup_id_z 0
		.amdhsa_system_sgpr_workgroup_info 0
		.amdhsa_system_vgpr_workitem_id 0
		.amdhsa_next_free_vgpr 27
		.amdhsa_next_free_sgpr 84
		.amdhsa_named_barrier_count 0
		.amdhsa_reserve_vcc 1
		.amdhsa_float_round_mode_32 0
		.amdhsa_float_round_mode_16_64 0
		.amdhsa_float_denorm_mode_32 3
		.amdhsa_float_denorm_mode_16_64 3
		.amdhsa_fp16_overflow 0
		.amdhsa_memory_ordered 1
		.amdhsa_forward_progress 1
		.amdhsa_inst_pref_size 15
		.amdhsa_round_robin_scheduling 0
		.amdhsa_exception_fp_ieee_invalid_op 0
		.amdhsa_exception_fp_denorm_src 0
		.amdhsa_exception_fp_ieee_div_zero 0
		.amdhsa_exception_fp_ieee_overflow 0
		.amdhsa_exception_fp_ieee_underflow 0
		.amdhsa_exception_fp_ieee_inexact 0
		.amdhsa_exception_int_div_zero 0
	.end_amdhsa_kernel
	.text
.Lfunc_end65:
	.size	naive_conv_ab_nonpacked_fwd_ndhwc_int8_t_int32_t_int32_t, .Lfunc_end65-naive_conv_ab_nonpacked_fwd_ndhwc_int8_t_int32_t_int32_t
                                        ; -- End function
	.set naive_conv_ab_nonpacked_fwd_ndhwc_int8_t_int32_t_int32_t.num_vgpr, 27
	.set naive_conv_ab_nonpacked_fwd_ndhwc_int8_t_int32_t_int32_t.num_agpr, 0
	.set naive_conv_ab_nonpacked_fwd_ndhwc_int8_t_int32_t_int32_t.numbered_sgpr, 84
	.set naive_conv_ab_nonpacked_fwd_ndhwc_int8_t_int32_t_int32_t.num_named_barrier, 0
	.set naive_conv_ab_nonpacked_fwd_ndhwc_int8_t_int32_t_int32_t.private_seg_size, 0
	.set naive_conv_ab_nonpacked_fwd_ndhwc_int8_t_int32_t_int32_t.uses_vcc, 1
	.set naive_conv_ab_nonpacked_fwd_ndhwc_int8_t_int32_t_int32_t.uses_flat_scratch, 0
	.set naive_conv_ab_nonpacked_fwd_ndhwc_int8_t_int32_t_int32_t.has_dyn_sized_stack, 0
	.set naive_conv_ab_nonpacked_fwd_ndhwc_int8_t_int32_t_int32_t.has_recursion, 0
	.set naive_conv_ab_nonpacked_fwd_ndhwc_int8_t_int32_t_int32_t.has_indirect_call, 0
	.section	.AMDGPU.csdata,"",@progbits
; Kernel info:
; codeLenInByte = 1844
; TotalNumSgprs: 86
; NumVgprs: 27
; ScratchSize: 0
; MemoryBound: 0
; FloatMode: 240
; IeeeMode: 1
; LDSByteSize: 0 bytes/workgroup (compile time only)
; SGPRBlocks: 0
; VGPRBlocks: 1
; NumSGPRsForWavesPerEU: 86
; NumVGPRsForWavesPerEU: 27
; NamedBarCnt: 0
; Occupancy: 16
; WaveLimiterHint : 1
; COMPUTE_PGM_RSRC2:SCRATCH_EN: 0
; COMPUTE_PGM_RSRC2:USER_SGPR: 2
; COMPUTE_PGM_RSRC2:TRAP_HANDLER: 0
; COMPUTE_PGM_RSRC2:TGID_X_EN: 1
; COMPUTE_PGM_RSRC2:TGID_Y_EN: 0
; COMPUTE_PGM_RSRC2:TGID_Z_EN: 0
; COMPUTE_PGM_RSRC2:TIDIG_COMP_CNT: 0
	.text
	.protected	naive_conv_ab_packed_fwd_ndhwc_int8_t_int32_t_float ; -- Begin function naive_conv_ab_packed_fwd_ndhwc_int8_t_int32_t_float
	.globl	naive_conv_ab_packed_fwd_ndhwc_int8_t_int32_t_float
	.p2align	8
	.type	naive_conv_ab_packed_fwd_ndhwc_int8_t_int32_t_float,@function
naive_conv_ab_packed_fwd_ndhwc_int8_t_int32_t_float: ; @naive_conv_ab_packed_fwd_ndhwc_int8_t_int32_t_float
; %bb.0:
	s_load_b512 s[4:19], s[0:1], 0xb8
	s_bfe_u32 s2, ttmp6, 0x4000c
	s_and_b32 s3, ttmp6, 15
	s_add_co_i32 s2, s2, 1
	s_getreg_b32 s20, hwreg(HW_REG_IB_STS2, 6, 4)
	s_mul_i32 s2, ttmp9, s2
	s_mov_b32 s26, exec_lo
	s_add_co_i32 s3, s3, s2
	s_cmp_eq_u32 s20, 0
	s_cselect_b32 s20, ttmp9, s3
	s_wait_kmcnt 0x0
	s_abs_i32 s3, s10
	s_mul_i32 s56, s12, s8
	s_cvt_f32_u32 s2, s3
	s_mul_i32 s33, s56, s11
	s_delay_alu instid0(SALU_CYCLE_2) | instskip(SKIP_1) | instid1(TRANS32_DEP_1)
	v_rcp_iflag_f32_e32 v1, s2
	v_nop
	v_readfirstlane_b32 s2, v1
	s_mul_f32 s2, s2, 0x4f7ffffe
	s_delay_alu instid0(SALU_CYCLE_3) | instskip(SKIP_1) | instid1(SALU_CYCLE_2)
	s_cvt_u32_f32 s21, s2
	s_sub_co_i32 s2, 0, s3
	s_mul_i32 s2, s2, s21
	s_delay_alu instid0(SALU_CYCLE_1) | instskip(SKIP_2) | instid1(SALU_CYCLE_1)
	s_mul_hi_u32 s22, s21, s2
	s_abs_i32 s2, s20
	s_add_co_i32 s21, s21, s22
	s_mul_hi_u32 s21, s2, s21
	s_delay_alu instid0(SALU_CYCLE_1) | instskip(SKIP_2) | instid1(SALU_CYCLE_1)
	s_mul_i32 s22, s21, s3
	s_add_co_i32 s23, s21, 1
	s_sub_co_i32 s22, s2, s22
	s_sub_co_i32 s24, s22, s3
	s_cmp_ge_u32 s22, s3
	s_cselect_b32 s21, s23, s21
	s_cselect_b32 s22, s24, s22
	s_add_co_i32 s23, s21, 1
	s_cmp_ge_u32 s22, s3
	s_mul_i32 s22, s10, s7
	s_cselect_b32 s24, s23, s21
	s_abs_i32 s21, s7
	s_abs_i32 s7, s22
	s_cvt_f32_u32 s3, s21
	s_cvt_f32_u32 s23, s7
	s_delay_alu instid0(SALU_CYCLE_2) | instskip(NEXT) | instid1(SALU_CYCLE_2)
	v_rcp_iflag_f32_e32 v1, s3
	v_rcp_iflag_f32_e32 v2, s23
	s_mov_b32 s3, 0
	s_delay_alu instid0(TRANS32_DEP_2) | instskip(NEXT) | instid1(TRANS32_DEP_1)
	v_readfirstlane_b32 s25, v1
	v_readfirstlane_b32 s23, v2
	v_cmpx_gt_i32_e64 s33, v0
	s_cbranch_execz .LBB66_21
; %bb.1:
	s_ashr_i32 s28, s20, 31
	s_ashr_i32 s51, s10, 31
	s_mul_f32 s25, s25, 0x4f7ffffe
	s_xor_b32 s26, s28, s51
	s_mul_f32 s23, s23, 0x4f7ffffe
	s_xor_b32 s24, s24, s26
	s_cvt_u32_f32 s25, s25
	s_sub_co_i32 s29, s24, s26
	s_sub_co_i32 s24, 0, s21
	s_cvt_u32_f32 s23, s23
	s_mul_i32 s24, s24, s25
	s_sub_co_i32 s31, 0, s7
	s_mul_hi_u32 s26, s25, s24
	s_abs_i32 s24, s29
	s_add_co_i32 s26, s25, s26
	s_mov_b32 s25, s3
	s_mov_b32 s27, s3
	s_mul_i32 s31, s31, s23
	s_mul_u64 s[26:27], s[24:25], s[26:27]
	s_mul_hi_u32 s25, s23, s31
	s_ashr_i32 s26, s22, 31
	s_add_co_i32 s22, s23, s25
	s_mul_i32 s23, s27, s21
	s_ashr_i32 s30, s29, 31
	s_mul_i32 s29, s29, s10
	s_sub_co_i32 s23, s24, s23
	s_sub_co_i32 s52, s20, s29
	;; [unrolled: 1-line block ×3, first 2 shown]
	s_cmp_ge_u32 s23, s21
	s_load_b64 s[34:35], s[0:1], 0x108
	s_cselect_b32 s20, s20, s23
	s_mov_b32 s50, s10
	s_sub_co_i32 s23, s20, s21
	s_cmp_ge_u32 s20, s21
	s_mov_b32 s62, s11
	s_cselect_b32 s20, s23, s20
	s_mov_b32 s23, s3
	s_xor_b32 s24, s20, s30
	s_mul_u64 s[20:21], s[2:3], s[22:23]
	s_sub_co_i32 s54, s24, s30
	s_mul_i32 s20, s21, s7
	s_xor_b32 s37, s28, s26
	s_sub_co_i32 s2, s2, s20
	s_load_b128 s[28:31], s[0:1], 0xf8
	s_add_co_i32 s20, s21, 1
	s_sub_co_i32 s22, s2, s7
	s_cmp_ge_u32 s2, s7
	s_mov_b32 s10, s12
	s_cselect_b32 s36, s20, s21
	s_cselect_b32 s2, s22, s2
	s_add_co_i32 s38, s36, 1
	s_cmp_ge_u32 s2, s7
	s_load_b256 s[20:27], s[0:1], 0x0
	s_cselect_b32 s2, s38, s36
	s_wait_kmcnt 0x0
	s_mul_i32 s36, s35, s8
	s_xor_b32 s2, s2, s37
	s_ashr_i32 s55, s54, 31
	s_ashr_i32 s63, s11, 31
	;; [unrolled: 1-line block ×3, first 2 shown]
	s_sub_co_i32 s58, s2, s37
	s_mul_u64 s[50:51], s[54:55], s[50:51]
	s_ashr_i32 s37, s36, 31
	s_ashr_i32 s53, s52, 31
	s_mul_u64 s[62:63], s[10:11], s[62:63]
	s_ashr_i32 s59, s58, 31
	s_ashr_i32 s43, s8, 31
	s_mov_b32 s42, s8
	s_add_nc_u64 s[64:65], s[50:51], s[52:53]
	s_mul_u64 s[62:63], s[62:63], s[36:37]
	s_mul_i32 s60, s35, s9
	s_mul_u64 s[46:47], s[58:59], s[42:43]
	s_mul_u64 s[62:63], s[62:63], s[64:65]
	s_ashr_i32 s39, s4, 31
	s_ashr_i32 s41, s5, 31
	;; [unrolled: 1-line block ×8, first 2 shown]
	s_lshl_b64 s[66:67], s[62:63], 2
	s_lshl_b64 s[68:69], s[46:47], 2
	s_cmp_lt_i32 s30, 1
	s_mul_i32 s2, s52, s13
	s_cselect_b32 s11, -1, 0
	s_sub_co_i32 s19, s2, s19
	s_cmp_gt_i32 s31, 0
	s_load_b32 s57, s[0:1], 0x11c
	s_cselect_b32 s42, -1, 0
	s_cmp_gt_i32 s34, 0
	s_wait_xcnt 0x0
	s_load_b64 s[0:1], s[0:1], 0x20
	s_cselect_b32 s62, -1, 0
	s_cmp_gt_i32 s9, 0
	v_cmp_neq_f64_e64 s13, s[24:25], 1.0
	s_cselect_b32 s63, -1, 0
	s_abs_i32 s64, s8
	v_cmp_neq_f64_e64 s70, s[26:27], 0
	s_cvt_f32_u32 s2, s64
	s_abs_i32 s65, s12
	s_mov_b32 s38, s4
	s_mov_b32 s40, s5
	v_rcp_iflag_f32_e32 v1, s2
	s_cvt_f32_u32 s2, s65
	v_cvt_i32_f64_e32 v22, s[26:27]
	s_mov_b32 s44, s9
	s_mov_b32 s48, s30
	s_mul_u64 s[52:53], s[58:59], s[44:45]
	s_mov_b32 s50, s31
	v_readfirstlane_b32 s4, v1
	v_rcp_iflag_f32_e32 v1, s2
	s_wait_kmcnt 0x0
	s_add_nc_u64 s[0:1], s[0:1], s[66:67]
	s_abs_i32 s66, s56
	s_mul_u64 s[30:31], s[34:35], s[44:45]
	s_mul_f32 s2, s4, 0x4f7ffffe
	s_add_nc_u64 s[4:5], s[0:1], s[68:69]
	s_cvt_f32_u32 s12, s66
	v_nop
	v_readfirstlane_b32 s1, v1
	v_cvt_i32_f64_e32 v1, s[24:25]
	s_cvt_u32_f32 s0, s2
	v_rcp_iflag_f32_e32 v2, s12
	s_sub_co_i32 s2, 0, s64
	s_mul_f32 s1, s1, 0x4f7ffffe
	s_mul_i32 s2, s2, s0
	s_sub_co_i32 s25, 0, s66
	s_mul_hi_u32 s2, s0, s2
	v_mov_b32_e32 v3, 0
	s_add_co_i32 s12, s0, s2
	s_cvt_u32_f32 s0, s1
	s_or_b32 s67, s13, s70
	v_readfirstlane_b32 s13, v2
	s_sub_co_i32 s2, 0, s65
	s_add_nc_u64 s[20:21], s[20:21], s[52:53]
	s_mul_i32 s2, s2, s0
	s_mul_u64 s[52:53], s[30:31], s[50:51]
	s_mul_f32 s1, s13, 0x4f7ffffe
	s_mul_hi_u32 s2, s0, s2
	s_and_b32 s68, s57, 0xffff
	s_add_co_i32 s24, s0, s2
	s_cvt_u32_f32 s1, s1
	s_mov_b32 s13, s3
	s_ashr_i32 s69, s56, 31
	s_mov_b32 s27, s3
	s_mul_i32 s0, s25, s1
	s_mov_b32 s25, s3
	s_mul_hi_u32 s0, s1, s0
	s_mul_u64 s[54:55], s[38:39], s[54:55]
	s_add_co_i32 s26, s1, s0
	s_mul_u64 s[56:57], s[52:53], s[48:49]
	s_mov_b32 s35, 0
	s_branch .LBB66_3
.LBB66_2:                               ;   in Loop: Header=BB66_3 Depth=1
	v_add_nc_u32_e32 v0, s68, v0
	s_delay_alu instid0(VALU_DEP_2) | instskip(NEXT) | instid1(VALU_DEP_2)
	v_cvt_f32_i32_e32 v2, v23
	v_cmp_le_i32_e32 vcc_lo, s33, v0
	global_store_b32 v[4:5], v2, off
	s_or_b32 s35, vcc_lo, s35
	s_wait_xcnt 0x0
	s_and_not1_b32 exec_lo, exec_lo, s35
	s_cbranch_execz .LBB66_21
.LBB66_3:                               ; =>This Loop Header: Depth=1
                                        ;     Child Loop BB66_8 Depth 2
                                        ;       Child Loop BB66_11 Depth 3
                                        ;         Child Loop BB66_14 Depth 4
                                        ;           Child Loop BB66_17 Depth 5
	v_sub_nc_u32_e32 v2, 0, v0
	s_mov_b32 s39, -1
	s_delay_alu instid0(VALU_DEP_1) | instskip(NEXT) | instid1(VALU_DEP_1)
	v_dual_ashrrev_i32 v8, 31, v0 :: v_dual_max_i32 v2, v0, v2
	v_mul_u64_e32 v[4:5], s[12:13], v[2:3]
	s_delay_alu instid0(VALU_DEP_1) | instskip(NEXT) | instid1(VALU_DEP_1)
	v_mul_lo_u32 v4, v5, s64
	v_dual_add_nc_u32 v6, 1, v5 :: v_dual_sub_nc_u32 v4, v2, v4
	s_delay_alu instid0(VALU_DEP_1) | instskip(NEXT) | instid1(VALU_DEP_2)
	v_cmp_le_u32_e32 vcc_lo, s64, v4
	v_cndmask_b32_e32 v5, v5, v6, vcc_lo
	v_subrev_nc_u32_e32 v7, s64, v4
	s_delay_alu instid0(VALU_DEP_1) | instskip(NEXT) | instid1(VALU_DEP_1)
	v_dual_add_nc_u32 v6, 1, v5 :: v_dual_cndmask_b32 v4, v4, v7, vcc_lo
	v_cmp_le_u32_e32 vcc_lo, s64, v4
	s_delay_alu instid0(VALU_DEP_2) | instskip(NEXT) | instid1(VALU_DEP_1)
	v_dual_cndmask_b32 v4, v5, v6, vcc_lo :: v_dual_bitop2_b32 v7, s43, v8 bitop3:0x14
	v_dual_mov_b32 v5, v3 :: v_dual_bitop2_b32 v4, v4, v7 bitop3:0x14
	s_delay_alu instid0(VALU_DEP_1) | instskip(SKIP_1) | instid1(VALU_DEP_1)
	v_sub_nc_u32_e32 v9, v4, v7
	v_mul_u64_e32 v[6:7], s[26:27], v[2:3]
	v_mul_lo_u32 v6, v7, s66
	s_delay_alu instid0(VALU_DEP_3) | instskip(NEXT) | instid1(VALU_DEP_1)
	v_sub_nc_u32_e32 v4, 0, v9
	v_max_i32_e32 v4, v9, v4
	s_delay_alu instid0(VALU_DEP_1) | instskip(NEXT) | instid1(VALU_DEP_1)
	v_mul_u64_e32 v[10:11], s[24:25], v[4:5]
	v_mul_lo_u32 v5, v11, s65
	s_delay_alu instid0(VALU_DEP_1) | instskip(SKIP_1) | instid1(VALU_DEP_2)
	v_dual_sub_nc_u32 v4, v4, v5 :: v_dual_sub_nc_u32 v5, v2, v6
	v_mul_lo_u32 v6, v9, s8
	v_subrev_nc_u32_e32 v2, s65, v4
	s_delay_alu instid0(VALU_DEP_3) | instskip(SKIP_2) | instid1(VALU_DEP_4)
	v_subrev_nc_u32_e32 v10, s66, v5
	v_cmp_le_u32_e32 vcc_lo, s65, v4
	v_cmp_le_u32_e64 s1, s66, v5
	v_cndmask_b32_e32 v2, v4, v2, vcc_lo
	s_delay_alu instid0(VALU_DEP_2) | instskip(SKIP_2) | instid1(VALU_DEP_3)
	v_cndmask_b32_e64 v5, v5, v10, s1
	v_sub_nc_u32_e32 v4, v0, v6
	s_and_not1_b32 vcc_lo, exec_lo, s11
	v_cmp_le_u32_e64 s0, s65, v2
	s_delay_alu instid0(VALU_DEP_3)
	v_cmp_le_u32_e64 s2, s66, v5
	s_cbranch_vccnz .LBB66_5
; %bb.4:                                ;   in Loop: Header=BB66_3 Depth=1
	v_ashrrev_i32_e32 v5, 31, v4
	s_mov_b32 s39, 0
.LBB66_5:                               ;   in Loop: Header=BB66_3 Depth=1
	v_dual_add_nc_u32 v6, 1, v7 :: v_dual_ashrrev_i32 v9, 31, v9
	s_and_not1_b32 vcc_lo, exec_lo, s39
	v_dual_mov_b32 v23, 0 :: v_dual_bitop2_b32 v8, s69, v8 bitop3:0x14
	s_delay_alu instid0(VALU_DEP_2) | instskip(SKIP_1) | instid1(VALU_DEP_1)
	v_cndmask_b32_e64 v6, v7, v6, s1
	v_subrev_nc_u32_e32 v7, s65, v2
	v_dual_add_nc_u32 v10, 1, v6 :: v_dual_cndmask_b32 v2, v2, v7, s0
	s_delay_alu instid0(VALU_DEP_1) | instskip(NEXT) | instid1(VALU_DEP_2)
	v_cndmask_b32_e64 v6, v6, v10, s2
	v_xor_b32_e32 v2, v2, v9
	s_delay_alu instid0(VALU_DEP_2) | instskip(NEXT) | instid1(VALU_DEP_1)
	v_xor_b32_e32 v7, v6, v8
	v_dual_sub_nc_u32 v6, v2, v9 :: v_dual_sub_nc_u32 v24, v7, v8
	s_cbranch_vccnz .LBB66_19
; %bb.6:                                ;   in Loop: Header=BB66_3 Depth=1
	v_dual_ashrrev_i32 v5, 31, v4 :: v_dual_mov_b32 v23, 0
	s_delay_alu instid0(VALU_DEP_2) | instskip(SKIP_2) | instid1(VALU_DEP_2)
	v_mul_lo_u32 v7, v24, s14
	s_mov_b32 s1, 0
	s_mov_b32 s2, s19
	v_add_nc_u64_e32 v[10:11], s[46:47], v[4:5]
	s_delay_alu instid0(VALU_DEP_1) | instskip(NEXT) | instid1(VALU_DEP_3)
	v_mad_nc_u64_u32 v[8:9], s56, v10, s[22:23]
	v_subrev_nc_u32_e32 v7, s28, v7
	s_delay_alu instid0(VALU_DEP_2) | instskip(SKIP_1) | instid1(VALU_DEP_2)
	v_mad_u32 v2, s57, v10, v9
	v_mul_lo_u32 v10, v6, s15
	v_mad_u32 v9, s56, v11, v2
	s_delay_alu instid0(VALU_DEP_2)
	v_subrev_nc_u32_e32 v25, s29, v10
	s_branch .LBB66_8
.LBB66_7:                               ;   in Loop: Header=BB66_8 Depth=2
	s_delay_alu instid0(VALU_DEP_1)
	v_add_nc_u64_e32 v[8:9], s[52:53], v[8:9]
	s_add_co_i32 s1, s1, 1
	s_add_co_i32 s2, s2, s16
	s_cmp_eq_u32 s1, s48
	s_cbranch_scc1 .LBB66_19
.LBB66_8:                               ;   Parent Loop BB66_3 Depth=1
                                        ; =>  This Loop Header: Depth=2
                                        ;       Child Loop BB66_11 Depth 3
                                        ;         Child Loop BB66_14 Depth 4
                                        ;           Child Loop BB66_17 Depth 5
	s_and_not1_b32 vcc_lo, exec_lo, s42
	s_cbranch_vccnz .LBB66_7
; %bb.9:                                ;   in Loop: Header=BB66_8 Depth=2
	s_mul_i32 s0, s1, s16
	s_delay_alu instid0(VALU_DEP_1)
	v_mov_b64_e32 v[10:11], v[8:9]
	s_add_co_i32 s0, s0, s19
	v_mov_b32_e32 v12, v7
	s_cmp_lt_i32 s0, 0
	s_add_nc_u64 s[58:59], s[54:55], s[2:3]
	s_cselect_b32 s49, -1, 0
	s_cmp_ge_i32 s0, s38
	s_mul_u64 s[58:59], s[40:41], s[58:59]
	s_cselect_b32 s0, -1, 0
	s_mov_b32 s39, 0
	s_or_b32 s49, s49, s0
	s_branch .LBB66_11
.LBB66_10:                              ;   in Loop: Header=BB66_11 Depth=3
	v_add_nc_u64_e32 v[10:11], s[30:31], v[10:11]
	v_add_nc_u32_e32 v12, s17, v12
	s_add_co_i32 s39, s39, 1
	s_delay_alu instid0(SALU_CYCLE_1)
	s_cmp_eq_u32 s39, s50
	s_cbranch_scc1 .LBB66_7
.LBB66_11:                              ;   Parent Loop BB66_3 Depth=1
                                        ;     Parent Loop BB66_8 Depth=2
                                        ; =>    This Loop Header: Depth=3
                                        ;         Child Loop BB66_14 Depth 4
                                        ;           Child Loop BB66_17 Depth 5
	s_and_not1_b32 vcc_lo, exec_lo, s62
	s_cbranch_vccnz .LBB66_10
; %bb.12:                               ;   in Loop: Header=BB66_11 Depth=3
	v_mad_u32 v2, s39, s17, v7
	v_mov_b32_e32 v13, v3
	v_mov_b64_e32 v[16:17], v[10:11]
	s_mov_b32 s51, 0
	s_delay_alu instid0(VALU_DEP_3) | instskip(SKIP_4) | instid1(SALU_CYCLE_1)
	v_cmp_gt_i32_e32 vcc_lo, 0, v2
	v_cmp_le_i32_e64 s0, s40, v2
	v_mov_b32_e32 v2, v25
	v_add_nc_u64_e32 v[14:15], s[58:59], v[12:13]
	s_or_b32 s0, vcc_lo, s0
	s_or_b32 s70, s49, s0
	s_delay_alu instid0(VALU_DEP_1)
	v_mul_u64_e32 v[14:15], s[6:7], v[14:15]
	s_branch .LBB66_14
.LBB66_13:                              ;   in Loop: Header=BB66_14 Depth=4
	v_add_nc_u64_e32 v[16:17], s[44:45], v[16:17]
	v_add_nc_u32_e32 v2, s18, v2
	s_add_co_i32 s51, s51, 1
	s_delay_alu instid0(SALU_CYCLE_1)
	s_cmp_eq_u32 s51, s34
	s_cbranch_scc1 .LBB66_10
.LBB66_14:                              ;   Parent Loop BB66_3 Depth=1
                                        ;     Parent Loop BB66_8 Depth=2
                                        ;       Parent Loop BB66_11 Depth=3
                                        ; =>      This Loop Header: Depth=4
                                        ;           Child Loop BB66_17 Depth 5
	s_and_not1_b32 vcc_lo, exec_lo, s63
	s_cbranch_vccnz .LBB66_13
; %bb.15:                               ;   in Loop: Header=BB66_14 Depth=4
	s_delay_alu instid0(VALU_DEP_1) | instskip(SKIP_2) | instid1(VALU_DEP_2)
	v_add_nc_u64_e32 v[20:21], v[14:15], v[2:3]
	v_mad_u32 v13, s51, s18, v25
	s_mov_b32 s71, s9
	v_mad_nc_u64_u32 v[18:19], s60, v20, s[20:21]
	s_delay_alu instid0(VALU_DEP_2) | instskip(SKIP_4) | instid1(VALU_DEP_1)
	v_cmp_gt_i32_e32 vcc_lo, 0, v13
	v_cmp_le_i32_e64 s0, s6, v13
	s_or_b32 s0, vcc_lo, s0
	v_mad_u32 v19, s61, v20, v19
	s_nor_b32 s0, s70, s0
	v_mad_u32 v19, s60, v21, v19
	v_mov_b64_e32 v[20:21], v[16:17]
	s_branch .LBB66_17
.LBB66_16:                              ;   in Loop: Header=BB66_17 Depth=5
	s_wait_xcnt 0x0
	s_or_b32 exec_lo, exec_lo, s72
	s_delay_alu instid0(VALU_DEP_2) | instskip(SKIP_2) | instid1(SALU_CYCLE_1)
	v_add_nc_u64_e32 v[18:19], 1, v[18:19]
	v_add_nc_u64_e32 v[20:21], 1, v[20:21]
	s_add_co_i32 s71, s71, -1
	s_cmp_eq_u32 s71, 0
	s_cbranch_scc1 .LBB66_13
.LBB66_17:                              ;   Parent Loop BB66_3 Depth=1
                                        ;     Parent Loop BB66_8 Depth=2
                                        ;       Parent Loop BB66_11 Depth=3
                                        ;         Parent Loop BB66_14 Depth=4
                                        ; =>        This Inner Loop Header: Depth=5
	s_and_saveexec_b32 s72, s0
	s_cbranch_execz .LBB66_16
; %bb.18:                               ;   in Loop: Header=BB66_17 Depth=5
	global_load_i8 v13, v[18:19], off
	global_load_i8 v26, v[20:21], off
	s_wait_loadcnt 0x0
	v_mad_i32_i24 v23, v26, v13, v23
	s_branch .LBB66_16
.LBB66_19:                              ;   in Loop: Header=BB66_3 Depth=1
	s_delay_alu instid0(VALU_DEP_1) | instskip(SKIP_1) | instid1(VALU_DEP_1)
	v_ashrrev_i32_e32 v7, 31, v6
	s_and_not1_b32 vcc_lo, exec_lo, s67
	v_mad_nc_i64_i32 v[6:7], v24, s10, v[6:7]
	s_delay_alu instid0(VALU_DEP_1) | instskip(NEXT) | instid1(VALU_DEP_1)
	v_mul_u64_e32 v[6:7], s[36:37], v[6:7]
	v_lshl_add_u64 v[6:7], v[6:7], 2, s[4:5]
	s_delay_alu instid0(VALU_DEP_1)
	v_lshl_add_u64 v[4:5], v[4:5], 2, v[6:7]
	s_cbranch_vccnz .LBB66_2
; %bb.20:                               ;   in Loop: Header=BB66_3 Depth=1
	global_load_b32 v2, v[4:5], off
	v_mul_lo_u32 v6, v23, v1
	s_wait_loadcnt 0x0
	v_cvt_i32_f32_e32 v2, v2
	s_delay_alu instid0(VALU_DEP_1)
	v_mad_u32 v23, v2, v22, v6
	s_branch .LBB66_2
.LBB66_21:
	s_endpgm
	.section	.rodata,"a",@progbits
	.p2align	6, 0x0
	.amdhsa_kernel naive_conv_ab_packed_fwd_ndhwc_int8_t_int32_t_float
		.amdhsa_group_segment_fixed_size 0
		.amdhsa_private_segment_fixed_size 0
		.amdhsa_kernarg_size 528
		.amdhsa_user_sgpr_count 2
		.amdhsa_user_sgpr_dispatch_ptr 0
		.amdhsa_user_sgpr_queue_ptr 0
		.amdhsa_user_sgpr_kernarg_segment_ptr 1
		.amdhsa_user_sgpr_dispatch_id 0
		.amdhsa_user_sgpr_kernarg_preload_length 0
		.amdhsa_user_sgpr_kernarg_preload_offset 0
		.amdhsa_user_sgpr_private_segment_size 0
		.amdhsa_wavefront_size32 1
		.amdhsa_uses_dynamic_stack 0
		.amdhsa_enable_private_segment 0
		.amdhsa_system_sgpr_workgroup_id_x 1
		.amdhsa_system_sgpr_workgroup_id_y 0
		.amdhsa_system_sgpr_workgroup_id_z 0
		.amdhsa_system_sgpr_workgroup_info 0
		.amdhsa_system_vgpr_workitem_id 0
		.amdhsa_next_free_vgpr 27
		.amdhsa_next_free_sgpr 73
		.amdhsa_named_barrier_count 0
		.amdhsa_reserve_vcc 1
		.amdhsa_float_round_mode_32 0
		.amdhsa_float_round_mode_16_64 0
		.amdhsa_float_denorm_mode_32 3
		.amdhsa_float_denorm_mode_16_64 3
		.amdhsa_fp16_overflow 0
		.amdhsa_memory_ordered 1
		.amdhsa_forward_progress 1
		.amdhsa_inst_pref_size 15
		.amdhsa_round_robin_scheduling 0
		.amdhsa_exception_fp_ieee_invalid_op 0
		.amdhsa_exception_fp_denorm_src 0
		.amdhsa_exception_fp_ieee_div_zero 0
		.amdhsa_exception_fp_ieee_overflow 0
		.amdhsa_exception_fp_ieee_underflow 0
		.amdhsa_exception_fp_ieee_inexact 0
		.amdhsa_exception_int_div_zero 0
	.end_amdhsa_kernel
	.text
.Lfunc_end66:
	.size	naive_conv_ab_packed_fwd_ndhwc_int8_t_int32_t_float, .Lfunc_end66-naive_conv_ab_packed_fwd_ndhwc_int8_t_int32_t_float
                                        ; -- End function
	.set naive_conv_ab_packed_fwd_ndhwc_int8_t_int32_t_float.num_vgpr, 27
	.set naive_conv_ab_packed_fwd_ndhwc_int8_t_int32_t_float.num_agpr, 0
	.set naive_conv_ab_packed_fwd_ndhwc_int8_t_int32_t_float.numbered_sgpr, 73
	.set naive_conv_ab_packed_fwd_ndhwc_int8_t_int32_t_float.num_named_barrier, 0
	.set naive_conv_ab_packed_fwd_ndhwc_int8_t_int32_t_float.private_seg_size, 0
	.set naive_conv_ab_packed_fwd_ndhwc_int8_t_int32_t_float.uses_vcc, 1
	.set naive_conv_ab_packed_fwd_ndhwc_int8_t_int32_t_float.uses_flat_scratch, 0
	.set naive_conv_ab_packed_fwd_ndhwc_int8_t_int32_t_float.has_dyn_sized_stack, 0
	.set naive_conv_ab_packed_fwd_ndhwc_int8_t_int32_t_float.has_recursion, 0
	.set naive_conv_ab_packed_fwd_ndhwc_int8_t_int32_t_float.has_indirect_call, 0
	.section	.AMDGPU.csdata,"",@progbits
; Kernel info:
; codeLenInByte = 1872
; TotalNumSgprs: 75
; NumVgprs: 27
; ScratchSize: 0
; MemoryBound: 0
; FloatMode: 240
; IeeeMode: 1
; LDSByteSize: 0 bytes/workgroup (compile time only)
; SGPRBlocks: 0
; VGPRBlocks: 1
; NumSGPRsForWavesPerEU: 75
; NumVGPRsForWavesPerEU: 27
; NamedBarCnt: 0
; Occupancy: 16
; WaveLimiterHint : 1
; COMPUTE_PGM_RSRC2:SCRATCH_EN: 0
; COMPUTE_PGM_RSRC2:USER_SGPR: 2
; COMPUTE_PGM_RSRC2:TRAP_HANDLER: 0
; COMPUTE_PGM_RSRC2:TGID_X_EN: 1
; COMPUTE_PGM_RSRC2:TGID_Y_EN: 0
; COMPUTE_PGM_RSRC2:TGID_Z_EN: 0
; COMPUTE_PGM_RSRC2:TIDIG_COMP_CNT: 0
	.text
	.protected	naive_conv_ab_nonpacked_fwd_ndhwc_int8_t_int32_t_float ; -- Begin function naive_conv_ab_nonpacked_fwd_ndhwc_int8_t_int32_t_float
	.globl	naive_conv_ab_nonpacked_fwd_ndhwc_int8_t_int32_t_float
	.p2align	8
	.type	naive_conv_ab_nonpacked_fwd_ndhwc_int8_t_int32_t_float,@function
naive_conv_ab_nonpacked_fwd_ndhwc_int8_t_int32_t_float: ; @naive_conv_ab_nonpacked_fwd_ndhwc_int8_t_int32_t_float
; %bb.0:
	s_load_b512 s[4:19], s[0:1], 0xb8
	s_bfe_u32 s2, ttmp6, 0x4000c
	s_and_b32 s3, ttmp6, 15
	s_add_co_i32 s2, s2, 1
	s_getreg_b32 s20, hwreg(HW_REG_IB_STS2, 6, 4)
	s_mul_i32 s2, ttmp9, s2
	s_mov_b32 s25, exec_lo
	s_add_co_i32 s3, s3, s2
	s_cmp_eq_u32 s20, 0
	s_cselect_b32 s20, ttmp9, s3
	s_wait_kmcnt 0x0
	s_abs_i32 s3, s10
	s_mul_i32 s34, s12, s8
	s_cvt_f32_u32 s2, s3
	s_delay_alu instid0(SALU_CYCLE_3) | instskip(SKIP_1) | instid1(TRANS32_DEP_1)
	v_rcp_iflag_f32_e32 v1, s2
	v_nop
	v_readfirstlane_b32 s2, v1
	s_mul_f32 s2, s2, 0x4f7ffffe
	s_delay_alu instid0(SALU_CYCLE_3) | instskip(SKIP_1) | instid1(SALU_CYCLE_2)
	s_cvt_u32_f32 s21, s2
	s_sub_co_i32 s2, 0, s3
	s_mul_i32 s2, s2, s21
	s_delay_alu instid0(SALU_CYCLE_1) | instskip(SKIP_2) | instid1(SALU_CYCLE_1)
	s_mul_hi_u32 s22, s21, s2
	s_abs_i32 s2, s20
	s_add_co_i32 s21, s21, s22
	s_mul_hi_u32 s21, s2, s21
	s_delay_alu instid0(SALU_CYCLE_1) | instskip(SKIP_2) | instid1(SALU_CYCLE_1)
	s_mul_i32 s22, s21, s3
	s_add_co_i32 s23, s21, 1
	s_sub_co_i32 s22, s2, s22
	s_sub_co_i32 s24, s22, s3
	s_cmp_ge_u32 s22, s3
	s_cselect_b32 s21, s23, s21
	s_cselect_b32 s22, s24, s22
	s_add_co_i32 s23, s21, 1
	s_cmp_ge_u32 s22, s3
	s_mul_i32 s22, s10, s7
	s_cselect_b32 s23, s23, s21
	s_abs_i32 s21, s7
	s_abs_i32 s33, s22
	s_cvt_f32_u32 s3, s21
	s_cvt_f32_u32 s7, s33
	s_delay_alu instid0(SALU_CYCLE_2) | instskip(NEXT) | instid1(SALU_CYCLE_2)
	v_rcp_iflag_f32_e32 v1, s3
	v_rcp_iflag_f32_e32 v2, s7
	s_mul_i32 s7, s34, s11
	s_mov_b32 s3, 0
	s_delay_alu instid0(TRANS32_DEP_2) | instskip(NEXT) | instid1(TRANS32_DEP_1)
	v_readfirstlane_b32 s24, v1
	v_readfirstlane_b32 s11, v2
	v_cmpx_gt_i32_e64 s7, v0
	s_cbranch_execz .LBB67_21
; %bb.1:
	s_mul_f32 s24, s24, 0x4f7ffffe
	s_ashr_i32 s35, s20, 31
	s_ashr_i32 s25, s10, 31
	s_mul_f32 s11, s11, 0x4f7ffffe
	s_cvt_u32_f32 s26, s24
	s_xor_b32 s25, s35, s25
	s_sub_co_i32 s24, 0, s21
	s_xor_b32 s23, s23, s25
	s_mul_i32 s24, s24, s26
	s_cvt_u32_f32 s11, s11
	s_sub_co_i32 s23, s23, s25
	s_mul_hi_u32 s25, s26, s24
	s_sub_co_i32 s28, 0, s33
	s_abs_i32 s24, s23
	s_add_co_i32 s26, s26, s25
	s_mov_b32 s25, s3
	s_mov_b32 s27, s3
	s_mul_i32 s28, s28, s11
	s_mul_u64 s[26:27], s[24:25], s[26:27]
	s_mul_hi_u32 s25, s11, s28
	s_ashr_i32 s26, s22, 31
	s_add_co_i32 s22, s11, s25
	s_mul_i32 s11, s27, s21
	s_ashr_i32 s58, s23, 31
	s_mul_i32 s23, s23, s10
	s_sub_co_i32 s11, s24, s11
	s_sub_co_i32 s10, s20, s23
	;; [unrolled: 1-line block ×3, first 2 shown]
	s_cmp_ge_u32 s11, s21
	s_mov_b32 s23, s3
	s_cselect_b32 s11, s20, s11
	s_mul_u64 s[56:57], s[2:3], s[22:23]
	s_sub_co_i32 s20, s11, s21
	s_cmp_ge_u32 s11, s21
	s_load_b512 s[36:51], s[0:1], 0x68
	s_cselect_b32 s11, s20, s11
	s_clause 0x1
	s_load_b128 s[28:31], s[0:1], 0xf8
	s_load_b128 s[52:55], s[0:1], 0xa8
	s_xor_b32 s11, s11, s58
	s_xor_b32 s35, s35, s26
	s_sub_co_i32 s72, s11, s58
	s_mul_i32 s11, s57, s33
	s_load_b256 s[20:27], s[0:1], 0x0
	s_sub_co_i32 s2, s2, s11
	s_add_co_i32 s11, s57, 1
	s_sub_co_i32 s56, s2, s33
	s_cmp_ge_u32 s2, s33
	s_load_b64 s[74:75], s[0:1], 0x20
	s_cselect_b32 s11, s11, s57
	s_cselect_b32 s2, s56, s2
	s_add_co_i32 s56, s11, 1
	s_cmp_ge_u32 s2, s33
	s_load_b32 s33, s[0:1], 0x108
	s_cselect_b32 s2, s56, s11
	s_ashr_i32 s73, s72, 31
	s_xor_b32 s2, s2, s35
	s_ashr_i32 s11, s10, 31
	s_sub_co_i32 s76, s2, s35
	s_wait_kmcnt 0x0
	s_mul_u64 s[54:55], s[54:55], s[72:73]
	s_ashr_i32 s77, s76, 31
	s_mul_u64 s[52:53], s[52:53], s[10:11]
	s_mul_u64 s[46:47], s[46:47], s[76:77]
	s_lshl_b64 s[78:79], s[54:55], 2
	s_lshl_b64 s[80:81], s[52:53], 2
	;; [unrolled: 1-line block ×3, first 2 shown]
	s_cmp_lt_i32 s30, 1
	s_load_b512 s[52:67], s[0:1], 0x28
	s_mul_i32 s2, s10, s13
	v_cmp_neq_f64_e64 s13, s[24:25], 1.0
	v_cmp_neq_f64_e64 s35, s[26:27], 0
	s_cselect_b32 s46, -1, 0
	s_sub_co_i32 s19, s2, s19
	s_cmp_gt_i32 s31, 0
	s_load_b32 s2, s[0:1], 0x11c
	s_cselect_b32 s47, -1, 0
	s_cmp_gt_i32 s33, 0
	s_add_nc_u64 s[10:11], s[74:75], s[78:79]
	s_cselect_b32 s68, -1, 0
	s_cmp_gt_i32 s9, 0
	s_mul_u64 s[74:75], s[42:43], s[76:77]
	s_cselect_b32 s69, -1, 0
	s_abs_i32 s70, s8
	s_abs_i32 s42, s34
	s_wait_xcnt 0x0
	s_cvt_f32_u32 s0, s70
	v_cvt_i32_f64_e32 v22, s[26:27]
	s_add_nc_u64 s[10:11], s[10:11], s[80:81]
	s_mov_b32 s27, s3
	v_rcp_iflag_f32_e32 v1, s0
	s_wait_kmcnt 0x0
	s_mul_u64 s[0:1], s[62:63], s[72:73]
	s_mul_u64 s[72:73], s[54:55], s[76:77]
	s_abs_i32 s54, s12
	s_add_nc_u64 s[0:1], s[72:73], s[0:1]
	s_cvt_f32_u32 s12, s54
	s_add_nc_u64 s[10:11], s[10:11], s[82:83]
	v_nop
	v_readfirstlane_b32 s55, v1
	v_cvt_i32_f64_e32 v1, s[24:25]
	v_rcp_iflag_f32_e32 v2, s12
	s_sub_co_i32 s24, 0, s70
	s_sub_co_i32 s25, 0, s54
	s_mul_f32 s12, s55, 0x4f7ffffe
	s_cvt_f32_u32 s55, s42
	s_or_b32 s43, s13, s35
	s_ashr_i32 s62, s8, 31
	v_nop
	v_readfirstlane_b32 s13, v2
	v_rcp_iflag_f32_e32 v3, s55
	s_cvt_u32_f32 s12, s12
	s_and_b32 s55, s2, 0xffff
	s_ashr_i32 s63, s34, 31
	s_mul_f32 s2, s13, 0x4f7ffffe
	s_mul_i32 s24, s24, s12
	s_add_nc_u64 s[22:23], s[22:23], s[74:75]
	v_nop
	v_readfirstlane_b32 s13, v3
	s_mul_hi_u32 s24, s12, s24
	s_cvt_u32_f32 s2, s2
	s_add_co_i32 s12, s12, s24
	v_mov_b32_e32 v3, 0
	s_mul_f32 s24, s13, 0x4f7ffffe
	s_mul_i32 s25, s25, s2
	s_mov_b32 s13, s3
	s_add_nc_u64 s[20:21], s[20:21], s[0:1]
	s_cvt_u32_f32 s26, s24
	s_mul_hi_u32 s24, s2, s25
	s_sub_co_i32 s25, 0, s42
	s_add_co_i32 s24, s2, s24
	s_mul_i32 s2, s25, s26
	s_mov_b32 s25, s3
	s_mul_hi_u32 s2, s26, s2
	s_mov_b32 s71, 0
	s_add_co_i32 s26, s26, s2
	s_branch .LBB67_3
.LBB67_2:                               ;   in Loop: Header=BB67_3 Depth=1
	v_add_nc_u32_e32 v0, s55, v0
	s_delay_alu instid0(VALU_DEP_2) | instskip(NEXT) | instid1(VALU_DEP_2)
	v_cvt_f32_i32_e32 v2, v2
	v_cmp_le_i32_e32 vcc_lo, s7, v0
	global_store_b32 v[4:5], v2, off
	s_or_b32 s71, vcc_lo, s71
	s_wait_xcnt 0x0
	s_and_not1_b32 exec_lo, exec_lo, s71
	s_cbranch_execz .LBB67_21
.LBB67_3:                               ; =>This Loop Header: Depth=1
                                        ;     Child Loop BB67_8 Depth 2
                                        ;       Child Loop BB67_11 Depth 3
                                        ;         Child Loop BB67_14 Depth 4
                                        ;           Child Loop BB67_17 Depth 5
	v_sub_nc_u32_e32 v2, 0, v0
	s_mov_b32 s34, -1
	s_delay_alu instid0(VALU_DEP_1) | instskip(NEXT) | instid1(VALU_DEP_1)
	v_dual_ashrrev_i32 v8, 31, v0 :: v_dual_max_i32 v2, v0, v2
	v_mul_u64_e32 v[4:5], s[12:13], v[2:3]
	s_delay_alu instid0(VALU_DEP_1) | instskip(NEXT) | instid1(VALU_DEP_1)
	v_mul_lo_u32 v4, v5, s70
	v_dual_add_nc_u32 v6, 1, v5 :: v_dual_sub_nc_u32 v4, v2, v4
	s_delay_alu instid0(VALU_DEP_1) | instskip(NEXT) | instid1(VALU_DEP_2)
	v_cmp_le_u32_e32 vcc_lo, s70, v4
	v_cndmask_b32_e32 v5, v5, v6, vcc_lo
	v_subrev_nc_u32_e32 v7, s70, v4
	s_delay_alu instid0(VALU_DEP_1) | instskip(NEXT) | instid1(VALU_DEP_1)
	v_dual_add_nc_u32 v6, 1, v5 :: v_dual_cndmask_b32 v4, v4, v7, vcc_lo
	v_cmp_le_u32_e32 vcc_lo, s70, v4
	s_delay_alu instid0(VALU_DEP_2) | instskip(NEXT) | instid1(VALU_DEP_1)
	v_dual_cndmask_b32 v4, v5, v6, vcc_lo :: v_dual_bitop2_b32 v7, s62, v8 bitop3:0x14
	v_dual_mov_b32 v5, v3 :: v_dual_bitop2_b32 v4, v4, v7 bitop3:0x14
	s_delay_alu instid0(VALU_DEP_1) | instskip(SKIP_1) | instid1(VALU_DEP_1)
	v_sub_nc_u32_e32 v9, v4, v7
	v_mul_u64_e32 v[6:7], s[26:27], v[2:3]
	v_mul_lo_u32 v6, v7, s42
	s_delay_alu instid0(VALU_DEP_3) | instskip(NEXT) | instid1(VALU_DEP_1)
	v_sub_nc_u32_e32 v4, 0, v9
	v_max_i32_e32 v4, v9, v4
	s_delay_alu instid0(VALU_DEP_1) | instskip(NEXT) | instid1(VALU_DEP_1)
	v_mul_u64_e32 v[10:11], s[24:25], v[4:5]
	v_mul_lo_u32 v5, v11, s54
	s_delay_alu instid0(VALU_DEP_1) | instskip(SKIP_1) | instid1(VALU_DEP_2)
	v_dual_sub_nc_u32 v4, v4, v5 :: v_dual_sub_nc_u32 v5, v2, v6
	v_mul_lo_u32 v6, v9, s8
	v_subrev_nc_u32_e32 v2, s54, v4
	s_delay_alu instid0(VALU_DEP_3) | instskip(SKIP_2) | instid1(VALU_DEP_4)
	v_subrev_nc_u32_e32 v10, s42, v5
	v_cmp_le_u32_e32 vcc_lo, s54, v4
	v_cmp_le_u32_e64 s1, s42, v5
	v_cndmask_b32_e32 v2, v4, v2, vcc_lo
	s_delay_alu instid0(VALU_DEP_2) | instskip(SKIP_2) | instid1(VALU_DEP_3)
	v_cndmask_b32_e64 v5, v5, v10, s1
	v_sub_nc_u32_e32 v4, v0, v6
	s_and_not1_b32 vcc_lo, exec_lo, s46
	v_cmp_le_u32_e64 s0, s54, v2
	s_delay_alu instid0(VALU_DEP_3)
	v_cmp_le_u32_e64 s2, s42, v5
	s_cbranch_vccnz .LBB67_5
; %bb.4:                                ;   in Loop: Header=BB67_3 Depth=1
	v_ashrrev_i32_e32 v5, 31, v4
	s_mov_b32 s34, 0
.LBB67_5:                               ;   in Loop: Header=BB67_3 Depth=1
	v_dual_add_nc_u32 v6, 1, v7 :: v_dual_ashrrev_i32 v9, 31, v9
	s_and_not1_b32 vcc_lo, exec_lo, s34
	s_delay_alu instid0(VALU_DEP_1) | instskip(SKIP_1) | instid1(VALU_DEP_1)
	v_dual_cndmask_b32 v6, v7, v6, s1 :: v_dual_bitop2_b32 v11, s63, v8 bitop3:0x14
	v_subrev_nc_u32_e32 v7, s54, v2
	v_dual_add_nc_u32 v10, 1, v6 :: v_dual_cndmask_b32 v2, v2, v7, s0
	s_delay_alu instid0(VALU_DEP_1) | instskip(NEXT) | instid1(VALU_DEP_2)
	v_cndmask_b32_e64 v6, v6, v10, s2
	v_xor_b32_e32 v2, v2, v9
	s_delay_alu instid0(VALU_DEP_1) | instskip(NEXT) | instid1(VALU_DEP_3)
	v_dual_sub_nc_u32 v8, v2, v9 :: v_dual_mov_b32 v2, 0
	v_xor_b32_e32 v6, v6, v11
	s_delay_alu instid0(VALU_DEP_1)
	v_sub_nc_u32_e32 v6, v6, v11
	s_cbranch_vccnz .LBB67_19
; %bb.6:                                ;   in Loop: Header=BB67_3 Depth=1
	v_mad_nc_u64_u32 v[10:11], s40, v4, s[22:23]
	s_delay_alu instid0(VALU_DEP_2) | instskip(SKIP_4) | instid1(VALU_DEP_4)
	v_mul_lo_u32 v7, v6, s14
	v_mul_lo_u32 v9, v8, s15
	v_ashrrev_i32_e32 v5, 31, v4
	s_mov_b32 s1, 0
	s_mov_b32 s2, s19
	v_mad_u32 v2, s41, v4, v11
	s_delay_alu instid0(VALU_DEP_4) | instskip(NEXT) | instid1(VALU_DEP_4)
	v_subrev_nc_u32_e32 v7, s28, v7
	v_subrev_nc_u32_e32 v9, s29, v9
	s_delay_alu instid0(VALU_DEP_3)
	v_mad_u32 v11, s40, v5, v2
	v_mov_b32_e32 v2, 0
	s_branch .LBB67_8
.LBB67_7:                               ;   in Loop: Header=BB67_8 Depth=2
	s_delay_alu instid0(VALU_DEP_1)
	v_add_nc_u64_e32 v[10:11], s[38:39], v[10:11]
	s_add_co_i32 s1, s1, 1
	s_add_co_i32 s2, s2, s16
	s_cmp_eq_u32 s1, s30
	s_cbranch_scc1 .LBB67_19
.LBB67_8:                               ;   Parent Loop BB67_3 Depth=1
                                        ; =>  This Loop Header: Depth=2
                                        ;       Child Loop BB67_11 Depth 3
                                        ;         Child Loop BB67_14 Depth 4
                                        ;           Child Loop BB67_17 Depth 5
	s_and_not1_b32 vcc_lo, exec_lo, s47
	s_cbranch_vccnz .LBB67_7
; %bb.9:                                ;   in Loop: Header=BB67_8 Depth=2
	s_mul_i32 s0, s1, s16
	s_delay_alu instid0(VALU_DEP_1)
	v_mov_b64_e32 v[12:13], v[10:11]
	s_add_co_i32 s0, s0, s19
	v_mov_b32_e32 v23, v7
	s_cmp_lt_i32 s0, 0
	s_mul_u64 s[34:35], s[60:61], s[2:3]
	s_cselect_b32 s73, -1, 0
	s_cmp_ge_i32 s0, s4
	s_mov_b32 s72, 0
	s_cselect_b32 s0, -1, 0
	s_add_nc_u64 s[34:35], s[20:21], s[34:35]
	s_or_b32 s73, s73, s0
	s_branch .LBB67_11
.LBB67_10:                              ;   in Loop: Header=BB67_11 Depth=3
	v_add_nc_u64_e32 v[12:13], s[36:37], v[12:13]
	v_add_nc_u32_e32 v23, s17, v23
	s_add_co_i32 s72, s72, 1
	s_delay_alu instid0(SALU_CYCLE_1)
	s_cmp_eq_u32 s72, s31
	s_cbranch_scc1 .LBB67_7
.LBB67_11:                              ;   Parent Loop BB67_3 Depth=1
                                        ;     Parent Loop BB67_8 Depth=2
                                        ; =>    This Loop Header: Depth=3
                                        ;         Child Loop BB67_14 Depth 4
                                        ;           Child Loop BB67_17 Depth 5
	s_and_not1_b32 vcc_lo, exec_lo, s68
	s_cbranch_vccnz .LBB67_10
; %bb.12:                               ;   in Loop: Header=BB67_11 Depth=3
	v_mad_nc_u64_u32 v[14:15], s58, v23, s[34:35]
	v_mad_u32 v16, s72, s17, v7
	v_mov_b32_e32 v24, v9
	s_mov_b32 s74, 0
	s_delay_alu instid0(VALU_DEP_3) | instskip(NEXT) | instid1(VALU_DEP_3)
	v_mad_u32 v15, s59, v23, v15
	v_cmp_gt_i32_e32 vcc_lo, 0, v16
	v_cmp_le_i32_e64 s0, s5, v16
	v_mov_b64_e32 v[16:17], v[12:13]
	s_or_b32 s0, vcc_lo, s0
	s_delay_alu instid0(SALU_CYCLE_1)
	s_or_b32 s75, s73, s0
	s_branch .LBB67_14
.LBB67_13:                              ;   in Loop: Header=BB67_14 Depth=4
	s_delay_alu instid0(VALU_DEP_1) | instskip(SKIP_2) | instid1(SALU_CYCLE_1)
	v_add_nc_u64_e32 v[16:17], s[66:67], v[16:17]
	v_add_nc_u32_e32 v24, s18, v24
	s_add_co_i32 s74, s74, 1
	s_cmp_eq_u32 s74, s33
	s_cbranch_scc1 .LBB67_10
.LBB67_14:                              ;   Parent Loop BB67_3 Depth=1
                                        ;     Parent Loop BB67_8 Depth=2
                                        ;       Parent Loop BB67_11 Depth=3
                                        ; =>      This Loop Header: Depth=4
                                        ;           Child Loop BB67_17 Depth 5
	s_and_not1_b32 vcc_lo, exec_lo, s69
	s_cbranch_vccnz .LBB67_13
; %bb.15:                               ;   in Loop: Header=BB67_14 Depth=4
	v_mad_nc_u64_u32 v[18:19], s56, v24, v[14:15]
	v_mad_u32 v20, s74, s18, v9
	s_mov_b32 s76, s9
	s_delay_alu instid0(VALU_DEP_2) | instskip(NEXT) | instid1(VALU_DEP_2)
	v_mad_u32 v19, s57, v24, v19
	v_cmp_gt_i32_e32 vcc_lo, 0, v20
	v_cmp_le_i32_e64 s0, s6, v20
	v_mov_b64_e32 v[20:21], v[16:17]
	s_or_b32 s0, vcc_lo, s0
	s_delay_alu instid0(SALU_CYCLE_1)
	s_nor_b32 s0, s75, s0
	s_branch .LBB67_17
.LBB67_16:                              ;   in Loop: Header=BB67_17 Depth=5
	s_wait_xcnt 0x0
	s_or_b32 exec_lo, exec_lo, s77
	v_add_nc_u64_e32 v[20:21], s[64:65], v[20:21]
	v_add_nc_u64_e32 v[18:19], s[52:53], v[18:19]
	s_add_co_i32 s76, s76, -1
	s_delay_alu instid0(SALU_CYCLE_1)
	s_cmp_eq_u32 s76, 0
	s_cbranch_scc1 .LBB67_13
.LBB67_17:                              ;   Parent Loop BB67_3 Depth=1
                                        ;     Parent Loop BB67_8 Depth=2
                                        ;       Parent Loop BB67_11 Depth=3
                                        ;         Parent Loop BB67_14 Depth=4
                                        ; =>        This Inner Loop Header: Depth=5
	s_and_saveexec_b32 s77, s0
	s_cbranch_execz .LBB67_16
; %bb.18:                               ;   in Loop: Header=BB67_17 Depth=5
	global_load_i8 v25, v[18:19], off
	global_load_i8 v26, v[20:21], off
	s_wait_loadcnt 0x0
	v_mad_i32_i24 v2, v26, v25, v2
	s_branch .LBB67_16
.LBB67_19:                              ;   in Loop: Header=BB67_3 Depth=1
	s_delay_alu instid0(VALU_DEP_1) | instskip(SKIP_2) | instid1(VALU_DEP_2)
	v_dual_ashrrev_i32 v9, 31, v8 :: v_dual_ashrrev_i32 v7, 31, v6
	v_mul_u64_e32 v[4:5], s[44:45], v[4:5]
	s_and_not1_b32 vcc_lo, exec_lo, s43
	v_mul_u64_e32 v[8:9], s[48:49], v[8:9]
	s_delay_alu instid0(VALU_DEP_3) | instskip(NEXT) | instid1(VALU_DEP_2)
	v_mul_u64_e32 v[6:7], s[50:51], v[6:7]
	v_lshl_add_u64 v[8:9], v[8:9], 2, s[10:11]
	s_delay_alu instid0(VALU_DEP_1) | instskip(NEXT) | instid1(VALU_DEP_1)
	v_lshl_add_u64 v[4:5], v[4:5], 2, v[8:9]
	v_lshl_add_u64 v[4:5], v[6:7], 2, v[4:5]
	s_cbranch_vccnz .LBB67_2
; %bb.20:                               ;   in Loop: Header=BB67_3 Depth=1
	global_load_b32 v6, v[4:5], off
	v_mul_lo_u32 v2, v2, v1
	s_wait_loadcnt 0x0
	v_cvt_i32_f32_e32 v6, v6
	s_delay_alu instid0(VALU_DEP_1)
	v_mad_u32 v2, v6, v22, v2
	s_branch .LBB67_2
.LBB67_21:
	s_endpgm
	.section	.rodata,"a",@progbits
	.p2align	6, 0x0
	.amdhsa_kernel naive_conv_ab_nonpacked_fwd_ndhwc_int8_t_int32_t_float
		.amdhsa_group_segment_fixed_size 0
		.amdhsa_private_segment_fixed_size 0
		.amdhsa_kernarg_size 528
		.amdhsa_user_sgpr_count 2
		.amdhsa_user_sgpr_dispatch_ptr 0
		.amdhsa_user_sgpr_queue_ptr 0
		.amdhsa_user_sgpr_kernarg_segment_ptr 1
		.amdhsa_user_sgpr_dispatch_id 0
		.amdhsa_user_sgpr_kernarg_preload_length 0
		.amdhsa_user_sgpr_kernarg_preload_offset 0
		.amdhsa_user_sgpr_private_segment_size 0
		.amdhsa_wavefront_size32 1
		.amdhsa_uses_dynamic_stack 0
		.amdhsa_enable_private_segment 0
		.amdhsa_system_sgpr_workgroup_id_x 1
		.amdhsa_system_sgpr_workgroup_id_y 0
		.amdhsa_system_sgpr_workgroup_id_z 0
		.amdhsa_system_sgpr_workgroup_info 0
		.amdhsa_system_vgpr_workitem_id 0
		.amdhsa_next_free_vgpr 27
		.amdhsa_next_free_sgpr 84
		.amdhsa_named_barrier_count 0
		.amdhsa_reserve_vcc 1
		.amdhsa_float_round_mode_32 0
		.amdhsa_float_round_mode_16_64 0
		.amdhsa_float_denorm_mode_32 3
		.amdhsa_float_denorm_mode_16_64 3
		.amdhsa_fp16_overflow 0
		.amdhsa_memory_ordered 1
		.amdhsa_forward_progress 1
		.amdhsa_inst_pref_size 15
		.amdhsa_round_robin_scheduling 0
		.amdhsa_exception_fp_ieee_invalid_op 0
		.amdhsa_exception_fp_denorm_src 0
		.amdhsa_exception_fp_ieee_div_zero 0
		.amdhsa_exception_fp_ieee_overflow 0
		.amdhsa_exception_fp_ieee_underflow 0
		.amdhsa_exception_fp_ieee_inexact 0
		.amdhsa_exception_int_div_zero 0
	.end_amdhsa_kernel
	.text
.Lfunc_end67:
	.size	naive_conv_ab_nonpacked_fwd_ndhwc_int8_t_int32_t_float, .Lfunc_end67-naive_conv_ab_nonpacked_fwd_ndhwc_int8_t_int32_t_float
                                        ; -- End function
	.set naive_conv_ab_nonpacked_fwd_ndhwc_int8_t_int32_t_float.num_vgpr, 27
	.set naive_conv_ab_nonpacked_fwd_ndhwc_int8_t_int32_t_float.num_agpr, 0
	.set naive_conv_ab_nonpacked_fwd_ndhwc_int8_t_int32_t_float.numbered_sgpr, 84
	.set naive_conv_ab_nonpacked_fwd_ndhwc_int8_t_int32_t_float.num_named_barrier, 0
	.set naive_conv_ab_nonpacked_fwd_ndhwc_int8_t_int32_t_float.private_seg_size, 0
	.set naive_conv_ab_nonpacked_fwd_ndhwc_int8_t_int32_t_float.uses_vcc, 1
	.set naive_conv_ab_nonpacked_fwd_ndhwc_int8_t_int32_t_float.uses_flat_scratch, 0
	.set naive_conv_ab_nonpacked_fwd_ndhwc_int8_t_int32_t_float.has_dyn_sized_stack, 0
	.set naive_conv_ab_nonpacked_fwd_ndhwc_int8_t_int32_t_float.has_recursion, 0
	.set naive_conv_ab_nonpacked_fwd_ndhwc_int8_t_int32_t_float.has_indirect_call, 0
	.section	.AMDGPU.csdata,"",@progbits
; Kernel info:
; codeLenInByte = 1812
; TotalNumSgprs: 86
; NumVgprs: 27
; ScratchSize: 0
; MemoryBound: 0
; FloatMode: 240
; IeeeMode: 1
; LDSByteSize: 0 bytes/workgroup (compile time only)
; SGPRBlocks: 0
; VGPRBlocks: 1
; NumSGPRsForWavesPerEU: 86
; NumVGPRsForWavesPerEU: 27
; NamedBarCnt: 0
; Occupancy: 16
; WaveLimiterHint : 1
; COMPUTE_PGM_RSRC2:SCRATCH_EN: 0
; COMPUTE_PGM_RSRC2:USER_SGPR: 2
; COMPUTE_PGM_RSRC2:TRAP_HANDLER: 0
; COMPUTE_PGM_RSRC2:TGID_X_EN: 1
; COMPUTE_PGM_RSRC2:TGID_Y_EN: 0
; COMPUTE_PGM_RSRC2:TGID_Z_EN: 0
; COMPUTE_PGM_RSRC2:TIDIG_COMP_CNT: 0
	.text
	.protected	naive_conv_ab_packed_bwd_ncdhw_float_double_float ; -- Begin function naive_conv_ab_packed_bwd_ncdhw_float_double_float
	.globl	naive_conv_ab_packed_bwd_ncdhw_float_double_float
	.p2align	8
	.type	naive_conv_ab_packed_bwd_ncdhw_float_double_float,@function
naive_conv_ab_packed_bwd_ncdhw_float_double_float: ; @naive_conv_ab_packed_bwd_ncdhw_float_double_float
; %bb.0:
	s_load_b512 s[4:19], s[0:1], 0xb8
	s_bfe_u32 s2, ttmp6, 0x4000c
	s_and_b32 s3, ttmp6, 15
	s_add_co_i32 s2, s2, 1
	s_getreg_b32 s20, hwreg(HW_REG_IB_STS2, 6, 4)
	s_mul_i32 s2, ttmp9, s2
	s_mov_b32 s26, exec_lo
	s_add_co_i32 s3, s3, s2
	s_cmp_eq_u32 s20, 0
	s_cselect_b32 s20, ttmp9, s3
	s_wait_kmcnt 0x0
	s_abs_i32 s3, s9
	s_mul_i32 s48, s6, s5
	s_cvt_f32_u32 s2, s3
	s_mul_i32 s33, s48, s4
	s_delay_alu instid0(SALU_CYCLE_2) | instskip(SKIP_1) | instid1(TRANS32_DEP_1)
	v_rcp_iflag_f32_e32 v1, s2
	v_nop
	v_readfirstlane_b32 s2, v1
	s_mul_f32 s2, s2, 0x4f7ffffe
	s_delay_alu instid0(SALU_CYCLE_3) | instskip(SKIP_1) | instid1(SALU_CYCLE_2)
	s_cvt_u32_f32 s21, s2
	s_sub_co_i32 s2, 0, s3
	s_mul_i32 s2, s2, s21
	s_delay_alu instid0(SALU_CYCLE_1) | instskip(SKIP_2) | instid1(SALU_CYCLE_1)
	s_mul_hi_u32 s22, s21, s2
	s_abs_i32 s2, s20
	s_add_co_i32 s21, s21, s22
	s_mul_hi_u32 s21, s2, s21
	s_delay_alu instid0(SALU_CYCLE_1) | instskip(SKIP_2) | instid1(SALU_CYCLE_1)
	s_mul_i32 s22, s21, s3
	s_add_co_i32 s23, s21, 1
	s_sub_co_i32 s22, s2, s22
	s_sub_co_i32 s24, s22, s3
	s_cmp_ge_u32 s22, s3
	s_cselect_b32 s21, s23, s21
	s_cselect_b32 s22, s24, s22
	s_add_co_i32 s23, s21, 1
	s_cmp_ge_u32 s22, s3
	s_mul_i32 s22, s9, s7
	s_cselect_b32 s24, s23, s21
	s_abs_i32 s21, s7
	s_abs_i32 s7, s22
	s_cvt_f32_u32 s3, s21
	s_cvt_f32_u32 s23, s7
	s_delay_alu instid0(SALU_CYCLE_2) | instskip(NEXT) | instid1(SALU_CYCLE_2)
	v_rcp_iflag_f32_e32 v1, s3
	v_rcp_iflag_f32_e32 v2, s23
	s_mov_b32 s3, 0
	s_delay_alu instid0(TRANS32_DEP_2) | instskip(NEXT) | instid1(TRANS32_DEP_1)
	v_readfirstlane_b32 s25, v1
	v_readfirstlane_b32 s23, v2
	v_cmpx_gt_i32_e64 s33, v0
	s_cbranch_execz .LBB68_36
; %bb.1:
	s_ashr_i32 s30, s20, 31
	s_ashr_i32 s53, s9, 31
	s_mul_f32 s25, s25, 0x4f7ffffe
	s_xor_b32 s26, s30, s53
	s_mul_f32 s23, s23, 0x4f7ffffe
	s_xor_b32 s24, s24, s26
	s_cvt_u32_f32 s25, s25
	s_sub_co_i32 s28, s24, s26
	s_sub_co_i32 s24, 0, s21
	s_cvt_u32_f32 s23, s23
	s_mul_i32 s24, s24, s25
	s_sub_co_i32 s29, 0, s7
	s_mul_hi_u32 s26, s25, s24
	s_abs_i32 s24, s28
	s_add_co_i32 s26, s25, s26
	s_mov_b32 s25, s3
	s_mov_b32 s27, s3
	s_mul_i32 s29, s29, s23
	s_mul_u64 s[26:27], s[24:25], s[26:27]
	s_mul_hi_u32 s25, s23, s29
	s_ashr_i32 s26, s22, 31
	s_add_co_i32 s22, s23, s25
	s_mul_i32 s23, s27, s21
	s_ashr_i32 s31, s28, 31
	s_mul_i32 s28, s28, s9
	s_sub_co_i32 s23, s24, s23
	s_sub_co_i32 s54, s20, s28
	s_sub_co_i32 s20, s23, s21
	s_cmp_ge_u32 s23, s21
	s_clause 0x1
	s_load_b64 s[34:35], s[0:1], 0x108
	s_load_b32 s49, s[0:1], 0x11c
	s_cselect_b32 s20, s20, s23
	s_mov_b32 s44, s4
	s_sub_co_i32 s23, s20, s21
	s_cmp_ge_u32 s20, s21
	s_mov_b32 s52, s9
	s_cselect_b32 s20, s23, s20
	s_mov_b32 s23, s3
	s_xor_b32 s20, s20, s31
	s_mul_u64 s[28:29], s[2:3], s[22:23]
	s_sub_co_i32 s40, s20, s31
	s_mul_i32 s20, s29, s7
	s_xor_b32 s38, s30, s26
	s_sub_co_i32 s2, s2, s20
	s_add_co_i32 s28, s29, 1
	s_sub_co_i32 s30, s2, s7
	s_cmp_ge_u32 s2, s7
	s_load_b256 s[20:27], s[0:1], 0x0
	s_cselect_b32 s36, s28, s29
	s_cselect_b32 s2, s30, s2
	s_add_co_i32 s37, s36, 1
	s_cmp_ge_u32 s2, s7
	s_load_b128 s[28:31], s[0:1], 0xf8
	s_cselect_b32 s2, s37, s36
	s_wait_kmcnt 0x0
	s_mul_i32 s36, s35, s9
	s_xor_b32 s2, s2, s38
	s_ashr_i32 s41, s40, 31
	s_ashr_i32 s37, s36, 31
	s_sub_co_i32 s38, s2, s38
	s_mul_u64 s[42:43], s[40:41], s[36:37]
	s_ashr_i32 s45, s4, 31
	s_ashr_i32 s37, s5, 31
	s_mov_b32 s36, s5
	s_ashr_i32 s39, s38, 31
	s_ashr_i32 s55, s54, 31
	;; [unrolled: 1-line block ×3, first 2 shown]
	s_mul_u64 s[46:47], s[38:39], s[52:53]
	s_add_nc_u64 s[42:43], s[42:43], s[54:55]
	s_mul_u64 s[44:45], s[36:37], s[44:45]
	s_add_nc_u64 s[42:43], s[42:43], s[46:47]
	s_mul_u64 s[44:45], s[44:45], s[6:7]
	s_mul_i32 s46, s35, s8
	s_mul_u64 s[42:43], s[44:45], s[42:43]
	s_ashr_i32 s47, s46, 31
	s_ashr_i32 s9, s8, 31
	s_lshl_b64 s[50:51], s[42:43], 2
	s_mul_u64 s[44:45], s[40:41], s[46:47]
	s_ashr_i32 s41, s10, 31
	s_mov_b32 s40, s10
	s_ashr_i32 s43, s11, 31
	s_mov_b32 s42, s11
	;; [unrolled: 2-line block ×3, first 2 shown]
	v_cmp_neq_f64_e64 s2, s[24:25], 1.0
	v_cmp_neq_f64_e64 s12, s[26:27], 0
	s_mul_u64 s[56:57], s[38:39], s[8:9]
	s_mul_u64 s[46:47], s[42:43], s[40:41]
	s_add_nc_u64 s[58:59], s[56:57], s[44:45]
	s_mul_u64 s[46:47], s[46:47], s[10:11]
	s_ashr_i32 s35, s34, 31
	s_mul_u64 s[46:47], s[46:47], s[58:59]
	s_load_b64 s[58:59], s[0:1], 0x20
	s_ashr_i32 s39, s30, 31
	s_ashr_i32 s45, s31, 31
	s_lshl_b64 s[46:47], s[46:47], 2
	s_cmp_gt_i32 s8, 0
	s_mov_b32 s44, s31
	s_cselect_b32 s9, -1, 0
	s_cmp_gt_i32 s30, 0
	s_mov_b32 s38, s30
	s_cselect_b32 s37, -1, 0
	s_cmp_gt_i32 s31, 0
	v_mov_b32_e32 v3, 0
	s_cselect_b32 s66, -1, 0
	s_cmp_gt_i32 s34, 0
	s_cselect_b32 s67, -1, 0
	s_abs_i32 s68, s6
	s_abs_i32 s69, s5
	s_wait_xcnt 0x0
	s_cvt_f32_u32 s0, s68
	s_abs_i32 s70, s48
	s_add_nc_u64 s[4:5], s[20:21], s[50:51]
	s_abs_i32 s73, s13
	v_rcp_iflag_f32_e32 v1, s0
	s_cvt_f32_u32 s0, s69
	s_wait_kmcnt 0x0
	s_add_nc_u64 s[20:21], s[58:59], s[46:47]
	s_or_b32 s71, s2, s12
	s_cvt_f32_u32 s2, s70
	v_rcp_iflag_f32_e32 v2, s0
	s_cvt_f32_u32 s47, s73
	v_readfirstlane_b32 s50, v1
	v_rcp_iflag_f32_e32 v1, s2
	s_and_b32 s72, s49, 0xffff
	s_abs_i32 s74, s14
	s_abs_i32 s76, s15
	v_readfirstlane_b32 s31, v2
	s_mul_f32 s30, s50, 0x4f7ffffe
	s_sub_co_i32 s50, 0, s70
	s_ashr_i32 s75, s48, 31
	s_ashr_i32 s77, s13, 31
	s_mul_f32 s31, s31, 0x4f7ffffe
	s_cvt_u32_f32 s12, s30
	s_sub_co_i32 s30, 0, s68
	s_sub_co_i32 s51, 0, s74
	s_cvt_u32_f32 s46, s31
	v_readfirstlane_b32 s31, v1
	s_mul_i32 s30, s30, s12
	v_rcp_iflag_f32_e32 v1, s47
	s_mul_hi_u32 s2, s12, s30
	s_sub_co_i32 s30, 0, s69
	s_mul_u64 s[0:1], s[56:57], s[52:53]
	s_mul_i32 s49, s30, s46
	s_add_co_i32 s30, s12, s2
	s_mul_f32 s12, s31, 0x4f7ffffe
	s_mul_hi_u32 s2, s46, s49
	s_cvt_f32_u32 s49, s74
	s_add_co_i32 s46, s46, s2
	s_cvt_u32_f32 s2, s12
	v_nop
	v_readfirstlane_b32 s12, v1
	v_rcp_iflag_f32_e32 v1, s49
	s_cvt_f32_u32 s49, s76
	s_mul_i32 s50, s50, s2
	s_ashr_i32 s78, s14, 31
	s_mul_f32 s12, s12, 0x4f7ffffe
	s_mul_hi_u32 s48, s2, s50
	s_sub_co_i32 s50, 0, s73
	s_add_co_i32 s48, s2, s48
	s_cvt_u32_f32 s2, s12
	v_nop
	v_readfirstlane_b32 s12, v1
	v_rcp_iflag_f32_e32 v1, s49
	s_mul_u64 s[56:57], s[34:35], s[44:45]
	s_mul_i32 s50, s50, s2
	s_add_nc_u64 s[0:1], s[0:1], s[54:55]
	s_mul_f32 s13, s12, 0x4f7ffffe
	s_mul_hi_u32 s12, s2, s50
	s_mul_u64 s[54:55], s[56:57], s[38:39]
	v_nop
	v_readfirstlane_b32 s50, v1
	s_add_co_i32 s12, s2, s12
	s_cvt_u32_f32 s2, s13
	s_mul_u64 s[0:1], s[54:55], s[0:1]
	s_mul_u64 s[52:53], s[54:55], s[52:53]
	s_mul_f32 s50, s50, 0x4f7ffffe
	s_mul_i32 s51, s51, s2
	s_lshl_b64 s[0:1], s[0:1], 2
	s_mul_hi_u32 s14, s2, s51
	s_cvt_u32_f32 s58, s50
	s_add_co_i32 s50, s2, s14
	s_sub_co_i32 s2, 0, s76
	s_mov_b32 s31, s3
	s_mul_i32 s2, s2, s58
	s_mov_b32 s47, s3
	s_mul_hi_u32 s2, s58, s2
	s_mov_b32 s49, s3
	s_mov_b32 s13, s3
	;; [unrolled: 1-line block ×3, first 2 shown]
	s_ashr_i32 s79, s15, 31
	s_add_co_i32 s14, s58, s2
	s_mov_b32 s15, s3
	s_add_nc_u64 s[22:23], s[22:23], s[0:1]
	s_lshl_b64 s[52:53], s[52:53], 2
	s_lshl_b64 s[54:55], s[56:57], 2
	;; [unrolled: 1-line block ×3, first 2 shown]
	s_mov_b32 s35, 0
	s_branch .LBB68_3
.LBB68_2:                               ;   in Loop: Header=BB68_3 Depth=1
	s_delay_alu instid0(VALU_DEP_1) | instskip(SKIP_1) | instid1(VALU_DEP_1)
	v_cvt_f32_f64_e32 v1, v[4:5]
	v_add_nc_u32_e32 v0, s72, v0
	v_cmp_le_i32_e32 vcc_lo, s33, v0
	s_or_b32 s35, vcc_lo, s35
	global_store_b32 v[6:7], v1, off
	s_wait_xcnt 0x0
	s_and_not1_b32 exec_lo, exec_lo, s35
	s_cbranch_execz .LBB68_36
.LBB68_3:                               ; =>This Loop Header: Depth=1
                                        ;     Child Loop BB68_6 Depth 2
                                        ;       Child Loop BB68_9 Depth 3
                                        ;         Child Loop BB68_18 Depth 4
                                        ;           Child Loop BB68_25 Depth 5
	v_dual_sub_nc_u32 v1, 0, v0 :: v_dual_ashrrev_i32 v10, 31, v0
	s_delay_alu instid0(VALU_DEP_1) | instskip(NEXT) | instid1(VALU_DEP_1)
	v_max_i32_e32 v2, v0, v1
	v_mul_u64_e32 v[4:5], s[30:31], v[2:3]
	s_delay_alu instid0(VALU_DEP_1) | instskip(SKIP_1) | instid1(VALU_DEP_2)
	v_mul_lo_u32 v1, v5, s68
	v_add_nc_u32_e32 v4, 1, v5
	v_sub_nc_u32_e32 v1, v2, v1
	s_delay_alu instid0(VALU_DEP_1) | instskip(SKIP_1) | instid1(VALU_DEP_4)
	v_subrev_nc_u32_e32 v6, s68, v1
	v_cmp_le_u32_e32 vcc_lo, s68, v1
	v_cndmask_b32_e32 v4, v5, v4, vcc_lo
	s_delay_alu instid0(VALU_DEP_3) | instskip(SKIP_1) | instid1(VALU_DEP_3)
	v_cndmask_b32_e32 v1, v1, v6, vcc_lo
	v_mul_u64_e32 v[8:9], s[48:49], v[2:3]
	v_add_nc_u32_e32 v5, 1, v4
	s_delay_alu instid0(VALU_DEP_3) | instskip(NEXT) | instid1(VALU_DEP_2)
	v_cmp_le_u32_e32 vcc_lo, s68, v1
	v_dual_cndmask_b32 v1, v4, v5, vcc_lo :: v_dual_bitop2_b32 v6, s7, v10 bitop3:0x14
	s_delay_alu instid0(VALU_DEP_1) | instskip(NEXT) | instid1(VALU_DEP_1)
	v_dual_mov_b32 v5, v3 :: v_dual_bitop2_b32 v1, v1, v6 bitop3:0x14
	v_sub_nc_u32_e32 v1, v1, v6
	s_delay_alu instid0(VALU_DEP_1) | instskip(NEXT) | instid1(VALU_DEP_1)
	v_sub_nc_u32_e32 v4, 0, v1
	v_max_i32_e32 v4, v1, v4
	s_delay_alu instid0(VALU_DEP_1) | instskip(SKIP_1) | instid1(VALU_DEP_1)
	v_mul_u64_e32 v[6:7], s[46:47], v[4:5]
	v_mul_lo_u32 v6, v9, s70
	v_dual_sub_nc_u32 v2, v2, v6 :: v_dual_add_nc_u32 v6, 1, v9
	s_delay_alu instid0(VALU_DEP_1) | instskip(NEXT) | instid1(VALU_DEP_4)
	v_cmp_le_u32_e32 vcc_lo, s70, v2
	v_mul_lo_u32 v5, v7, s69
	v_subrev_nc_u32_e32 v7, s70, v2
	s_delay_alu instid0(VALU_DEP_1) | instskip(SKIP_1) | instid1(VALU_DEP_2)
	v_dual_cndmask_b32 v2, v2, v7, vcc_lo :: v_dual_sub_nc_u32 v4, v4, v5
	v_mul_lo_u32 v8, v1, s6
	v_subrev_nc_u32_e32 v5, s69, v4
	v_cmp_le_u32_e64 s0, s69, v4
	s_delay_alu instid0(VALU_DEP_1) | instskip(SKIP_1) | instid1(VALU_DEP_2)
	v_dual_cndmask_b32 v4, v4, v5, s0 :: v_dual_cndmask_b32 v5, v9, v6, vcc_lo
	v_xor_b32_e32 v9, s75, v10
	v_subrev_nc_u32_e32 v6, s69, v4
	v_cmp_le_u32_e32 vcc_lo, s69, v4
	s_delay_alu instid0(VALU_DEP_2) | instskip(SKIP_2) | instid1(VALU_DEP_1)
	v_dual_cndmask_b32 v4, v4, v6 :: v_dual_add_nc_u32 v7, 1, v5
	v_cmp_le_u32_e32 vcc_lo, s70, v2
	v_dual_ashrrev_i32 v1, 31, v1 :: v_dual_sub_nc_u32 v6, v0, v8
	v_dual_cndmask_b32 v2, v5, v7, vcc_lo :: v_dual_bitop2_b32 v4, v4, v1 bitop3:0x14
	s_and_not1_b32 vcc_lo, exec_lo, s9
	s_delay_alu instid0(VALU_DEP_1) | instskip(NEXT) | instid1(VALU_DEP_2)
	v_xor_b32_e32 v2, v2, v9
	v_sub_nc_u32_e32 v8, v4, v1
	s_delay_alu instid0(VALU_DEP_2)
	v_sub_nc_u32_e32 v1, v2, v9
	s_cbranch_vccnz .LBB68_33
; %bb.4:                                ;   in Loop: Header=BB68_3 Depth=1
	v_mov_b64_e32 v[4:5], 0
	s_delay_alu instid0(VALU_DEP_2)
	v_dual_add_nc_u32 v7, s19, v1 :: v_dual_add_nc_u32 v9, s28, v8
	v_add_nc_u32_e32 v16, s29, v6
	s_mov_b32 s2, 0
	s_mov_b64 s[0:1], s[22:23]
	s_branch .LBB68_6
.LBB68_5:                               ;   in Loop: Header=BB68_6 Depth=2
	s_add_co_i32 s2, s2, 1
	s_add_nc_u64 s[0:1], s[0:1], s[52:53]
	s_cmp_eq_u32 s2, s8
	s_cbranch_scc1 .LBB68_34
.LBB68_6:                               ;   Parent Loop BB68_3 Depth=1
                                        ; =>  This Loop Header: Depth=2
                                        ;       Child Loop BB68_9 Depth 3
                                        ;         Child Loop BB68_18 Depth 4
                                        ;           Child Loop BB68_25 Depth 5
	s_and_not1_b32 vcc_lo, exec_lo, s37
	s_cbranch_vccnz .LBB68_5
; %bb.7:                                ;   in Loop: Header=BB68_6 Depth=2
	s_mul_u64 s[58:59], s[2:3], s[40:41]
	s_mov_b32 s39, 0
	s_mov_b64 s[60:61], s[0:1]
	s_branch .LBB68_9
.LBB68_8:                               ;   in Loop: Header=BB68_9 Depth=3
	s_add_co_i32 s39, s39, 1
	s_add_nc_u64 s[60:61], s[60:61], s[54:55]
	s_cmp_eq_u32 s39, s38
	s_cbranch_scc1 .LBB68_5
.LBB68_9:                               ;   Parent Loop BB68_3 Depth=1
                                        ;     Parent Loop BB68_6 Depth=2
                                        ; =>    This Loop Header: Depth=3
                                        ;         Child Loop BB68_18 Depth 4
                                        ;           Child Loop BB68_25 Depth 5
	s_mul_i32 s45, s16, s39
	s_mov_b32 s62, exec_lo
	v_subrev_nc_u32_e32 v14, s45, v7
	s_mov_b32 s45, 0
                                        ; implicit-def: $vgpr11
                                        ; implicit-def: $vgpr10
                                        ; implicit-def: $vgpr13
	s_delay_alu instid0(VALU_DEP_1) | instskip(NEXT) | instid1(VALU_DEP_1)
	v_dual_sub_nc_u32 v2, 0, v14 :: v_dual_ashrrev_i32 v12, 31, v14
	v_max_i32_e32 v2, v14, v2
	v_cmpx_lt_i32_e32 -1, v14
	s_xor_b32 s62, exec_lo, s62
	s_cbranch_execnz .LBB68_13
; %bb.10:                               ;   in Loop: Header=BB68_9 Depth=3
	s_and_not1_saveexec_b32 s62, s62
	s_cbranch_execnz .LBB68_14
.LBB68_11:                              ;   in Loop: Header=BB68_9 Depth=3
	s_or_b32 exec_lo, exec_lo, s62
	v_mov_b32_e32 v2, 1
	s_and_saveexec_b32 s62, s45
	s_cbranch_execnz .LBB68_15
.LBB68_12:                              ;   in Loop: Header=BB68_9 Depth=3
	s_or_b32 exec_lo, exec_lo, s62
	s_delay_alu instid0(SALU_CYCLE_1)
	s_and_not1_b32 vcc_lo, exec_lo, s66
	s_cbranch_vccz .LBB68_16
	s_branch .LBB68_8
.LBB68_13:                              ;   in Loop: Header=BB68_9 Depth=3
	s_delay_alu instid0(VALU_DEP_2) | instskip(SKIP_1) | instid1(VALU_DEP_2)
	v_mul_u64_e32 v[10:11], s[12:13], v[2:3]
	v_ashrrev_i32_e32 v12, 31, v14
	v_mul_lo_u32 v10, v11, s73
	s_delay_alu instid0(VALU_DEP_1) | instskip(NEXT) | instid1(VALU_DEP_1)
	v_sub_nc_u32_e32 v10, v2, v10
	v_subrev_nc_u32_e32 v13, s73, v10
	v_cmp_le_u32_e32 vcc_lo, s73, v10
	s_delay_alu instid0(VALU_DEP_2) | instskip(NEXT) | instid1(VALU_DEP_1)
	v_cndmask_b32_e32 v2, v10, v13, vcc_lo
	v_subrev_nc_u32_e32 v15, s73, v2
	v_cmp_le_u32_e32 vcc_lo, s73, v2
	s_delay_alu instid0(VALU_DEP_2) | instskip(NEXT) | instid1(VALU_DEP_1)
	v_cndmask_b32_e32 v2, v2, v15, vcc_lo
	v_xor_b32_e32 v2, v2, v12
	s_delay_alu instid0(VALU_DEP_1) | instskip(NEXT) | instid1(VALU_DEP_1)
	v_sub_nc_u32_e32 v2, v2, v12
	v_cmp_ne_u32_e32 vcc_lo, 0, v2
	s_and_b32 s45, vcc_lo, exec_lo
	s_and_not1_saveexec_b32 s62, s62
	s_cbranch_execz .LBB68_11
.LBB68_14:                              ;   in Loop: Header=BB68_9 Depth=3
	v_mul_u64_e32 v[10:11], s[12:13], v[2:3]
	s_or_b32 s45, s45, exec_lo
	s_delay_alu instid0(VALU_DEP_1) | instskip(NEXT) | instid1(VALU_DEP_1)
	v_mul_lo_u32 v10, v11, s73
	v_sub_nc_u32_e32 v10, v2, v10
	s_delay_alu instid0(VALU_DEP_1)
	v_subrev_nc_u32_e32 v13, s73, v10
	s_or_b32 exec_lo, exec_lo, s62
	v_mov_b32_e32 v2, 1
	s_and_saveexec_b32 s62, s45
	s_cbranch_execz .LBB68_12
.LBB68_15:                              ;   in Loop: Header=BB68_9 Depth=3
	v_mov_b32_e32 v2, 0
	s_or_b32 exec_lo, exec_lo, s62
	s_delay_alu instid0(SALU_CYCLE_1)
	s_and_not1_b32 vcc_lo, exec_lo, s66
	s_cbranch_vccnz .LBB68_8
.LBB68_16:                              ;   in Loop: Header=BB68_9 Depth=3
	v_cmp_le_u32_e32 vcc_lo, s73, v10
	v_add_nc_u32_e32 v14, 1, v11
	s_mov_b32 s45, 0
	s_mov_b64 s[62:63], s[60:61]
	v_dual_cndmask_b32 v10, v10, v13, vcc_lo :: v_dual_bitop2_b32 v12, s77, v12 bitop3:0x14
	s_delay_alu instid0(VALU_DEP_2) | instskip(NEXT) | instid1(VALU_DEP_2)
	v_cndmask_b32_e32 v11, v11, v14, vcc_lo
	v_cmp_le_u32_e32 vcc_lo, s73, v10
	s_delay_alu instid0(VALU_DEP_2) | instskip(NEXT) | instid1(VALU_DEP_1)
	v_add_nc_u32_e32 v13, 1, v11
	v_cndmask_b32_e32 v10, v11, v13, vcc_lo
	s_delay_alu instid0(VALU_DEP_1) | instskip(NEXT) | instid1(VALU_DEP_1)
	v_xor_b32_e32 v10, v10, v12
	v_sub_nc_u32_e32 v12, v10, v12
	s_delay_alu instid0(VALU_DEP_1) | instskip(SKIP_1) | instid1(VALU_DEP_1)
	v_cmp_gt_i32_e32 vcc_lo, s40, v12
	v_dual_cndmask_b32 v17, 0, v2, vcc_lo :: v_dual_ashrrev_i32 v13, 31, v12
	v_add_nc_u64_e32 v[10:11], s[58:59], v[12:13]
	s_delay_alu instid0(VALU_DEP_1)
	v_mul_u64_e32 v[10:11], s[42:43], v[10:11]
	s_branch .LBB68_18
.LBB68_17:                              ;   in Loop: Header=BB68_18 Depth=4
	s_add_co_i32 s45, s45, 1
	s_add_nc_u64 s[62:63], s[62:63], s[56:57]
	s_cmp_eq_u32 s45, s44
	s_cbranch_scc1 .LBB68_8
.LBB68_18:                              ;   Parent Loop BB68_3 Depth=1
                                        ;     Parent Loop BB68_6 Depth=2
                                        ;       Parent Loop BB68_9 Depth=3
                                        ; =>      This Loop Header: Depth=4
                                        ;           Child Loop BB68_25 Depth 5
	s_mul_i32 s64, s17, s45
	s_delay_alu instid0(SALU_CYCLE_1) | instskip(NEXT) | instid1(VALU_DEP_1)
	v_subrev_nc_u32_e32 v2, s64, v9
	v_dual_sub_nc_u32 v13, 0, v2 :: v_dual_ashrrev_i32 v12, 31, v2
	v_cmp_gt_i32_e64 s64, 0, v2
	v_cmp_lt_i32_e32 vcc_lo, -1, v2
	s_delay_alu instid0(VALU_DEP_3)
	v_max_i32_e32 v2, v2, v13
	s_and_saveexec_b32 s65, vcc_lo
	s_cbranch_execnz .LBB68_21
; %bb.19:                               ;   in Loop: Header=BB68_18 Depth=4
	s_or_b32 exec_lo, exec_lo, s65
	v_mov_b32_e32 v13, 1
	s_and_saveexec_b32 s65, s64
	s_cbranch_execnz .LBB68_22
.LBB68_20:                              ;   in Loop: Header=BB68_18 Depth=4
	s_or_b32 exec_lo, exec_lo, s65
	s_delay_alu instid0(SALU_CYCLE_1)
	s_and_not1_b32 vcc_lo, exec_lo, s67
	s_cbranch_vccz .LBB68_23
	s_branch .LBB68_17
.LBB68_21:                              ;   in Loop: Header=BB68_18 Depth=4
	s_delay_alu instid0(VALU_DEP_1) | instskip(SKIP_1) | instid1(VALU_DEP_1)
	v_mul_u64_e32 v[14:15], s[50:51], v[2:3]
	s_and_not1_b32 s64, s64, exec_lo
	v_mul_lo_u32 v13, v15, s74
	s_delay_alu instid0(VALU_DEP_1) | instskip(NEXT) | instid1(VALU_DEP_1)
	v_sub_nc_u32_e32 v13, v2, v13
	v_subrev_nc_u32_e32 v14, s74, v13
	v_cmp_le_u32_e32 vcc_lo, s74, v13
	s_delay_alu instid0(VALU_DEP_2) | instskip(NEXT) | instid1(VALU_DEP_1)
	v_cndmask_b32_e32 v13, v13, v14, vcc_lo
	v_subrev_nc_u32_e32 v14, s74, v13
	v_cmp_le_u32_e32 vcc_lo, s74, v13
	s_delay_alu instid0(VALU_DEP_2) | instskip(NEXT) | instid1(VALU_DEP_1)
	v_cndmask_b32_e32 v13, v13, v14, vcc_lo
	v_xor_b32_e32 v13, v13, v12
	s_delay_alu instid0(VALU_DEP_1) | instskip(NEXT) | instid1(VALU_DEP_1)
	v_sub_nc_u32_e32 v13, v13, v12
	v_cmp_ne_u32_e32 vcc_lo, 0, v13
	s_and_b32 s80, vcc_lo, exec_lo
	s_delay_alu instid0(SALU_CYCLE_1)
	s_or_b32 s64, s64, s80
	s_or_b32 exec_lo, exec_lo, s65
	v_mov_b32_e32 v13, 1
	s_and_saveexec_b32 s65, s64
	s_cbranch_execz .LBB68_20
.LBB68_22:                              ;   in Loop: Header=BB68_18 Depth=4
	v_mov_b32_e32 v13, 0
	s_or_b32 exec_lo, exec_lo, s65
	s_delay_alu instid0(SALU_CYCLE_1)
	s_and_not1_b32 vcc_lo, exec_lo, s67
	s_cbranch_vccnz .LBB68_17
.LBB68_23:                              ;   in Loop: Header=BB68_18 Depth=4
	v_mul_u64_e32 v[14:15], s[50:51], v[2:3]
	s_mov_b64 s[64:65], s[62:63]
	s_mov_b32 s80, s34
	v_xor_b32_e32 v12, s78, v12
	s_delay_alu instid0(VALU_DEP_2) | instskip(NEXT) | instid1(VALU_DEP_1)
	v_mul_lo_u32 v14, v15, s74
	v_dual_sub_nc_u32 v2, v2, v14 :: v_dual_add_nc_u32 v14, 1, v15
	s_delay_alu instid0(VALU_DEP_1) | instskip(SKIP_1) | instid1(VALU_DEP_3)
	v_subrev_nc_u32_e32 v18, s74, v2
	v_cmp_le_u32_e32 vcc_lo, s74, v2
	v_cndmask_b32_e32 v14, v15, v14, vcc_lo
	s_delay_alu instid0(VALU_DEP_3) | instskip(NEXT) | instid1(VALU_DEP_2)
	v_cndmask_b32_e32 v2, v2, v18, vcc_lo
	v_add_nc_u32_e32 v15, 1, v14
	s_delay_alu instid0(VALU_DEP_2) | instskip(NEXT) | instid1(VALU_DEP_2)
	v_cmp_le_u32_e32 vcc_lo, s74, v2
	v_cndmask_b32_e32 v2, v14, v15, vcc_lo
	s_delay_alu instid0(VALU_DEP_1) | instskip(NEXT) | instid1(VALU_DEP_1)
	v_xor_b32_e32 v2, v2, v12
	v_sub_nc_u32_e32 v14, v2, v12
	s_delay_alu instid0(VALU_DEP_1) | instskip(SKIP_1) | instid1(VALU_DEP_1)
	v_cmp_gt_i32_e32 vcc_lo, s42, v14
	v_dual_cndmask_b32 v2, 0, v13 :: v_dual_ashrrev_i32 v15, 31, v14
	v_add_nc_u64_e32 v[18:19], v[10:11], v[14:15]
	s_delay_alu instid0(VALU_DEP_1) | instskip(NEXT) | instid1(VALU_DEP_3)
	v_mul_u64_e32 v[20:21], s[10:11], v[18:19]
	v_dual_mov_b32 v19, v16 :: v_dual_bitop2_b32 v18, v2, v17 bitop3:0x40
	s_delay_alu instid0(VALU_DEP_2)
	v_lshl_add_u64 v[12:13], v[20:21], 2, s[20:21]
	s_branch .LBB68_25
.LBB68_24:                              ;   in Loop: Header=BB68_25 Depth=5
	s_or_b32 exec_lo, exec_lo, s81
	v_subrev_nc_u32_e32 v19, s18, v19
	s_add_co_i32 s80, s80, -1
	s_add_nc_u64 s[64:65], s[64:65], 4
	s_cmp_eq_u32 s80, 0
	s_cbranch_scc1 .LBB68_17
.LBB68_25:                              ;   Parent Loop BB68_3 Depth=1
                                        ;     Parent Loop BB68_6 Depth=2
                                        ;       Parent Loop BB68_9 Depth=3
                                        ;         Parent Loop BB68_18 Depth=4
                                        ; =>        This Inner Loop Header: Depth=5
	s_delay_alu instid0(VALU_DEP_2) | instskip(SKIP_2) | instid1(VALU_DEP_1)
	v_dual_sub_nc_u32 v2, 0, v19 :: v_dual_ashrrev_i32 v20, 31, v19
	s_mov_b32 s81, 0
	s_mov_b32 s82, exec_lo
                                        ; implicit-def: $vgpr15
                                        ; implicit-def: $vgpr14
                                        ; implicit-def: $vgpr21
	v_max_i32_e32 v2, v19, v2
	v_cmpx_lt_i32_e32 -1, v19
	s_xor_b32 s82, exec_lo, s82
	s_cbranch_execnz .LBB68_31
; %bb.26:                               ;   in Loop: Header=BB68_25 Depth=5
	s_and_not1_saveexec_b32 s82, s82
	s_cbranch_execnz .LBB68_32
.LBB68_27:                              ;   in Loop: Header=BB68_25 Depth=5
	s_or_b32 exec_lo, exec_lo, s82
	v_mov_b32_e32 v2, 1
	s_and_saveexec_b32 s82, s81
.LBB68_28:                              ;   in Loop: Header=BB68_25 Depth=5
	v_mov_b32_e32 v2, 0
.LBB68_29:                              ;   in Loop: Header=BB68_25 Depth=5
	s_or_b32 exec_lo, exec_lo, s82
	v_cmp_le_u32_e32 vcc_lo, s76, v14
	v_add_nc_u32_e32 v22, 1, v15
	s_mov_b32 s81, exec_lo
	v_dual_cndmask_b32 v14, v14, v21, vcc_lo :: v_dual_bitop2_b32 v20, s79, v20 bitop3:0x14
	s_delay_alu instid0(VALU_DEP_2) | instskip(NEXT) | instid1(VALU_DEP_2)
	v_cndmask_b32_e32 v15, v15, v22, vcc_lo
	v_cmp_le_u32_e32 vcc_lo, s76, v14
	s_delay_alu instid0(VALU_DEP_2) | instskip(NEXT) | instid1(VALU_DEP_1)
	v_add_nc_u32_e32 v21, 1, v15
	v_cndmask_b32_e32 v14, v15, v21, vcc_lo
	s_delay_alu instid0(VALU_DEP_1) | instskip(NEXT) | instid1(VALU_DEP_1)
	v_xor_b32_e32 v14, v14, v20
	v_sub_nc_u32_e32 v14, v14, v20
	s_delay_alu instid0(VALU_DEP_1) | instskip(SKIP_1) | instid1(VALU_DEP_1)
	v_cmp_gt_i32_e32 vcc_lo, s10, v14
	v_cndmask_b32_e32 v2, 0, v2, vcc_lo
	v_and_b32_e32 v2, v18, v2
	s_delay_alu instid0(VALU_DEP_1) | instskip(NEXT) | instid1(VALU_DEP_1)
	v_and_b32_e32 v2, 1, v2
	v_cmpx_eq_u32_e32 1, v2
	s_cbranch_execz .LBB68_24
; %bb.30:                               ;   in Loop: Header=BB68_25 Depth=5
	v_ashrrev_i32_e32 v15, 31, v14
	s_load_b32 s82, s[64:65], 0x0
	s_delay_alu instid0(VALU_DEP_1)
	v_lshl_add_u64 v[14:15], v[14:15], 2, v[12:13]
	global_load_b32 v2, v[14:15], off
	s_wait_kmcnt 0x0
	v_cvt_f64_f32_e32 v[20:21], s82
	s_wait_loadcnt 0x0
	s_wait_xcnt 0x0
	v_cvt_f64_f32_e32 v[14:15], v2
	s_delay_alu instid0(VALU_DEP_1)
	v_fmac_f64_e32 v[4:5], v[14:15], v[20:21]
	s_branch .LBB68_24
.LBB68_31:                              ;   in Loop: Header=BB68_25 Depth=5
	s_delay_alu instid0(VALU_DEP_2) | instskip(SKIP_1) | instid1(VALU_DEP_2)
	v_mul_u64_e32 v[14:15], s[14:15], v[2:3]
	v_ashrrev_i32_e32 v20, 31, v19
	v_mul_lo_u32 v14, v15, s76
	s_delay_alu instid0(VALU_DEP_1) | instskip(NEXT) | instid1(VALU_DEP_1)
	v_sub_nc_u32_e32 v14, v2, v14
	v_subrev_nc_u32_e32 v21, s76, v14
	v_cmp_le_u32_e32 vcc_lo, s76, v14
	s_delay_alu instid0(VALU_DEP_2) | instskip(NEXT) | instid1(VALU_DEP_1)
	v_cndmask_b32_e32 v2, v14, v21, vcc_lo
	v_subrev_nc_u32_e32 v22, s76, v2
	v_cmp_le_u32_e32 vcc_lo, s76, v2
	s_delay_alu instid0(VALU_DEP_2) | instskip(NEXT) | instid1(VALU_DEP_1)
	v_cndmask_b32_e32 v2, v2, v22, vcc_lo
	v_xor_b32_e32 v2, v2, v20
	s_delay_alu instid0(VALU_DEP_1) | instskip(NEXT) | instid1(VALU_DEP_1)
	v_sub_nc_u32_e32 v2, v2, v20
	v_cmp_ne_u32_e32 vcc_lo, 0, v2
	s_and_b32 s81, vcc_lo, exec_lo
	s_and_not1_saveexec_b32 s82, s82
	s_cbranch_execz .LBB68_27
.LBB68_32:                              ;   in Loop: Header=BB68_25 Depth=5
	v_mul_u64_e32 v[14:15], s[14:15], v[2:3]
	s_or_b32 s81, s81, exec_lo
	s_delay_alu instid0(VALU_DEP_1) | instskip(NEXT) | instid1(VALU_DEP_1)
	v_mul_lo_u32 v14, v15, s76
	v_sub_nc_u32_e32 v14, v2, v14
	s_delay_alu instid0(VALU_DEP_1)
	v_subrev_nc_u32_e32 v21, s76, v14
	s_or_b32 exec_lo, exec_lo, s82
	v_mov_b32_e32 v2, 1
	s_and_saveexec_b32 s82, s81
	s_cbranch_execnz .LBB68_28
	s_branch .LBB68_29
.LBB68_33:                              ;   in Loop: Header=BB68_3 Depth=1
	v_mov_b64_e32 v[4:5], 0
.LBB68_34:                              ;   in Loop: Header=BB68_3 Depth=1
	s_delay_alu instid0(VALU_DEP_3) | instskip(SKIP_1) | instid1(VALU_DEP_1)
	v_dual_ashrrev_i32 v9, 31, v8 :: v_dual_ashrrev_i32 v7, 31, v6
	s_and_not1_b32 vcc_lo, exec_lo, s71
	v_mad_nc_i64_i32 v[8:9], v1, s36, v[8:9]
	s_delay_alu instid0(VALU_DEP_1) | instskip(NEXT) | instid1(VALU_DEP_1)
	v_mul_u64_e32 v[8:9], s[6:7], v[8:9]
	v_lshl_add_u64 v[8:9], v[8:9], 2, s[4:5]
	s_delay_alu instid0(VALU_DEP_1)
	v_lshl_add_u64 v[6:7], v[6:7], 2, v[8:9]
	s_cbranch_vccnz .LBB68_2
; %bb.35:                               ;   in Loop: Header=BB68_3 Depth=1
	global_load_b32 v1, v[6:7], off
	s_wait_loadcnt 0x0
	v_cvt_f64_f32_e32 v[8:9], v1
	s_delay_alu instid0(VALU_DEP_1) | instskip(NEXT) | instid1(VALU_DEP_1)
	v_mul_f64_e32 v[8:9], s[26:27], v[8:9]
	v_fmac_f64_e32 v[8:9], s[24:25], v[4:5]
	s_delay_alu instid0(VALU_DEP_1)
	v_mov_b64_e32 v[4:5], v[8:9]
	s_branch .LBB68_2
.LBB68_36:
	s_endpgm
	.section	.rodata,"a",@progbits
	.p2align	6, 0x0
	.amdhsa_kernel naive_conv_ab_packed_bwd_ncdhw_float_double_float
		.amdhsa_group_segment_fixed_size 0
		.amdhsa_private_segment_fixed_size 0
		.amdhsa_kernarg_size 528
		.amdhsa_user_sgpr_count 2
		.amdhsa_user_sgpr_dispatch_ptr 0
		.amdhsa_user_sgpr_queue_ptr 0
		.amdhsa_user_sgpr_kernarg_segment_ptr 1
		.amdhsa_user_sgpr_dispatch_id 0
		.amdhsa_user_sgpr_kernarg_preload_length 0
		.amdhsa_user_sgpr_kernarg_preload_offset 0
		.amdhsa_user_sgpr_private_segment_size 0
		.amdhsa_wavefront_size32 1
		.amdhsa_uses_dynamic_stack 0
		.amdhsa_enable_private_segment 0
		.amdhsa_system_sgpr_workgroup_id_x 1
		.amdhsa_system_sgpr_workgroup_id_y 0
		.amdhsa_system_sgpr_workgroup_id_z 0
		.amdhsa_system_sgpr_workgroup_info 0
		.amdhsa_system_vgpr_workitem_id 0
		.amdhsa_next_free_vgpr 23
		.amdhsa_next_free_sgpr 83
		.amdhsa_named_barrier_count 0
		.amdhsa_reserve_vcc 1
		.amdhsa_float_round_mode_32 0
		.amdhsa_float_round_mode_16_64 0
		.amdhsa_float_denorm_mode_32 3
		.amdhsa_float_denorm_mode_16_64 3
		.amdhsa_fp16_overflow 0
		.amdhsa_memory_ordered 1
		.amdhsa_forward_progress 1
		.amdhsa_inst_pref_size 22
		.amdhsa_round_robin_scheduling 0
		.amdhsa_exception_fp_ieee_invalid_op 0
		.amdhsa_exception_fp_denorm_src 0
		.amdhsa_exception_fp_ieee_div_zero 0
		.amdhsa_exception_fp_ieee_overflow 0
		.amdhsa_exception_fp_ieee_underflow 0
		.amdhsa_exception_fp_ieee_inexact 0
		.amdhsa_exception_int_div_zero 0
	.end_amdhsa_kernel
	.text
.Lfunc_end68:
	.size	naive_conv_ab_packed_bwd_ncdhw_float_double_float, .Lfunc_end68-naive_conv_ab_packed_bwd_ncdhw_float_double_float
                                        ; -- End function
	.set naive_conv_ab_packed_bwd_ncdhw_float_double_float.num_vgpr, 23
	.set naive_conv_ab_packed_bwd_ncdhw_float_double_float.num_agpr, 0
	.set naive_conv_ab_packed_bwd_ncdhw_float_double_float.numbered_sgpr, 83
	.set naive_conv_ab_packed_bwd_ncdhw_float_double_float.num_named_barrier, 0
	.set naive_conv_ab_packed_bwd_ncdhw_float_double_float.private_seg_size, 0
	.set naive_conv_ab_packed_bwd_ncdhw_float_double_float.uses_vcc, 1
	.set naive_conv_ab_packed_bwd_ncdhw_float_double_float.uses_flat_scratch, 0
	.set naive_conv_ab_packed_bwd_ncdhw_float_double_float.has_dyn_sized_stack, 0
	.set naive_conv_ab_packed_bwd_ncdhw_float_double_float.has_recursion, 0
	.set naive_conv_ab_packed_bwd_ncdhw_float_double_float.has_indirect_call, 0
	.section	.AMDGPU.csdata,"",@progbits
; Kernel info:
; codeLenInByte = 2768
; TotalNumSgprs: 85
; NumVgprs: 23
; ScratchSize: 0
; MemoryBound: 0
; FloatMode: 240
; IeeeMode: 1
; LDSByteSize: 0 bytes/workgroup (compile time only)
; SGPRBlocks: 0
; VGPRBlocks: 1
; NumSGPRsForWavesPerEU: 85
; NumVGPRsForWavesPerEU: 23
; NamedBarCnt: 0
; Occupancy: 16
; WaveLimiterHint : 1
; COMPUTE_PGM_RSRC2:SCRATCH_EN: 0
; COMPUTE_PGM_RSRC2:USER_SGPR: 2
; COMPUTE_PGM_RSRC2:TRAP_HANDLER: 0
; COMPUTE_PGM_RSRC2:TGID_X_EN: 1
; COMPUTE_PGM_RSRC2:TGID_Y_EN: 0
; COMPUTE_PGM_RSRC2:TGID_Z_EN: 0
; COMPUTE_PGM_RSRC2:TIDIG_COMP_CNT: 0
	.text
	.protected	naive_conv_ab_nonpacked_bwd_ncdhw_float_double_float ; -- Begin function naive_conv_ab_nonpacked_bwd_ncdhw_float_double_float
	.globl	naive_conv_ab_nonpacked_bwd_ncdhw_float_double_float
	.p2align	8
	.type	naive_conv_ab_nonpacked_bwd_ncdhw_float_double_float,@function
naive_conv_ab_nonpacked_bwd_ncdhw_float_double_float: ; @naive_conv_ab_nonpacked_bwd_ncdhw_float_double_float
; %bb.0:
	s_load_b512 s[4:19], s[0:1], 0xb8
	s_bfe_u32 s2, ttmp6, 0x4000c
	s_and_b32 s3, ttmp6, 15
	s_add_co_i32 s2, s2, 1
	s_getreg_b32 s20, hwreg(HW_REG_IB_STS2, 6, 4)
	s_mul_i32 s2, ttmp9, s2
	s_mov_b32 s25, exec_lo
	s_add_co_i32 s3, s3, s2
	s_cmp_eq_u32 s20, 0
	s_cselect_b32 s20, ttmp9, s3
	s_wait_kmcnt 0x0
	s_abs_i32 s3, s9
	s_mul_i32 s68, s6, s5
	s_cvt_f32_u32 s2, s3
	s_delay_alu instid0(SALU_CYCLE_3) | instskip(SKIP_1) | instid1(TRANS32_DEP_1)
	v_rcp_iflag_f32_e32 v1, s2
	v_nop
	v_readfirstlane_b32 s2, v1
	s_mul_f32 s2, s2, 0x4f7ffffe
	s_delay_alu instid0(SALU_CYCLE_3) | instskip(SKIP_1) | instid1(SALU_CYCLE_2)
	s_cvt_u32_f32 s21, s2
	s_sub_co_i32 s2, 0, s3
	s_mul_i32 s2, s2, s21
	s_delay_alu instid0(SALU_CYCLE_1) | instskip(SKIP_2) | instid1(SALU_CYCLE_1)
	s_mul_hi_u32 s22, s21, s2
	s_abs_i32 s2, s20
	s_add_co_i32 s21, s21, s22
	s_mul_hi_u32 s21, s2, s21
	s_delay_alu instid0(SALU_CYCLE_1) | instskip(SKIP_2) | instid1(SALU_CYCLE_1)
	s_mul_i32 s22, s21, s3
	s_add_co_i32 s23, s21, 1
	s_sub_co_i32 s22, s2, s22
	s_sub_co_i32 s24, s22, s3
	s_cmp_ge_u32 s22, s3
	s_cselect_b32 s21, s23, s21
	s_cselect_b32 s22, s24, s22
	s_add_co_i32 s23, s21, 1
	s_cmp_ge_u32 s22, s3
	s_mul_i32 s22, s9, s7
	s_cselect_b32 s23, s23, s21
	s_abs_i32 s21, s7
	s_abs_i32 s28, s22
	s_cvt_f32_u32 s3, s21
	s_cvt_f32_u32 s7, s28
	s_delay_alu instid0(SALU_CYCLE_2) | instskip(NEXT) | instid1(SALU_CYCLE_2)
	v_rcp_iflag_f32_e32 v1, s3
	v_rcp_iflag_f32_e32 v2, s7
	s_mul_i32 s7, s68, s4
	s_mov_b32 s3, 0
	s_delay_alu instid0(TRANS32_DEP_2) | instskip(NEXT) | instid1(TRANS32_DEP_1)
	v_readfirstlane_b32 s24, v1
	v_readfirstlane_b32 s4, v2
	v_cmpx_gt_i32_e64 s7, v0
	s_cbranch_execz .LBB69_36
; %bb.1:
	s_mul_f32 s24, s24, 0x4f7ffffe
	s_ashr_i32 s29, s20, 31
	s_ashr_i32 s25, s9, 31
	s_mul_f32 s4, s4, 0x4f7ffffe
	s_cvt_u32_f32 s26, s24
	s_xor_b32 s25, s29, s25
	s_sub_co_i32 s24, 0, s21
	s_xor_b32 s23, s23, s25
	s_mul_i32 s24, s24, s26
	s_cvt_u32_f32 s4, s4
	s_sub_co_i32 s23, s23, s25
	s_mul_hi_u32 s25, s26, s24
	s_sub_co_i32 s30, 0, s28
	s_abs_i32 s24, s23
	s_add_co_i32 s26, s26, s25
	s_mov_b32 s25, s3
	s_mov_b32 s27, s3
	s_mul_i32 s30, s30, s4
	s_mul_u64 s[26:27], s[24:25], s[26:27]
	s_mul_hi_u32 s25, s4, s30
	s_ashr_i32 s26, s22, 31
	s_add_co_i32 s22, s4, s25
	s_mul_i32 s4, s27, s21
	s_ashr_i32 s33, s23, 31
	s_mul_i32 s23, s23, s9
	s_sub_co_i32 s4, s24, s4
	s_sub_co_i32 s70, s20, s23
	;; [unrolled: 1-line block ×3, first 2 shown]
	s_cmp_ge_u32 s4, s21
	s_mov_b32 s23, s3
	s_cselect_b32 s4, s9, s4
	s_mul_u64 s[30:31], s[2:3], s[22:23]
	s_sub_co_i32 s9, s4, s21
	s_cmp_ge_u32 s4, s21
	s_load_b512 s[36:51], s[0:1], 0x28
	s_cselect_b32 s4, s9, s4
	s_load_b128 s[52:55], s[0:1], 0xa8
	s_xor_b32 s4, s4, s33
	s_load_b64 s[82:83], s[0:1], 0x20
	s_sub_co_i32 s34, s4, s33
	s_xor_b32 s33, s29, s26
	s_load_b256 s[20:27], s[0:1], 0x0
	s_mul_i32 s4, s31, s28
	v_mov_b32_e32 v3, 0
	s_sub_co_i32 s2, s2, s4
	s_add_co_i32 s4, s31, 1
	s_sub_co_i32 s9, s2, s28
	s_cmp_ge_u32 s2, s28
	s_load_b32 s84, s[0:1], 0x11c
	s_cselect_b32 s4, s4, s31
	s_cselect_b32 s2, s9, s2
	s_add_co_i32 s9, s4, 1
	s_cmp_ge_u32 s2, s28
	s_load_b128 s[28:31], s[0:1], 0xf8
	s_cselect_b32 s2, s9, s4
	s_load_b32 s9, s[0:1], 0x108
	s_xor_b32 s2, s2, s33
	s_ashr_i32 s35, s34, 31
	s_sub_co_i32 s72, s2, s33
	s_ashr_i32 s71, s70, 31
	s_ashr_i32 s73, s72, 31
	s_wait_kmcnt 0x0
	v_cmp_neq_f64_e64 s2, s[24:25], 1.0
	v_cmp_neq_f64_e64 s69, s[26:27], 0
	s_mul_u64 s[46:47], s[46:47], s[34:35]
	s_mul_u64 s[44:45], s[44:45], s[72:73]
	;; [unrolled: 1-line block ×5, first 2 shown]
	s_lshl_b64 s[46:47], s[46:47], 2
	s_lshl_b64 s[44:45], s[44:45], 2
	;; [unrolled: 1-line block ×5, first 2 shown]
	s_cmp_gt_i32 s8, 0
	s_load_b512 s[52:67], s[0:1], 0x68
	s_cselect_b32 s33, -1, 0
	s_cmp_gt_i32 s30, 0
	s_cselect_b32 s74, -1, 0
	s_cmp_gt_i32 s31, 0
	;; [unrolled: 2-line block ×3, first 2 shown]
	s_cselect_b32 s76, -1, 0
	s_abs_i32 s77, s6
	s_abs_i32 s78, s5
	s_cvt_f32_u32 s4, s77
	s_cvt_f32_u32 s79, s78
	s_abs_i32 s86, s15
	s_ashr_i32 s85, s68, 31
	v_rcp_iflag_f32_e32 v1, s4
	s_add_nc_u64 s[4:5], s[20:21], s[46:47]
	v_rcp_iflag_f32_e32 v2, s79
	s_add_nc_u64 s[20:21], s[82:83], s[34:35]
	s_wait_xcnt 0x0
	s_add_nc_u64 s[0:1], s[4:5], s[44:45]
	s_add_nc_u64 s[20:21], s[20:21], s[80:81]
	s_abs_i32 s80, s68
	v_readfirstlane_b32 s44, v1
	s_or_b32 s79, s2, s69
	s_cvt_f32_u32 s2, s80
	s_add_nc_u64 s[4:5], s[0:1], s[42:43]
	v_readfirstlane_b32 s1, v2
	s_mul_f32 s0, s44, 0x4f7ffffe
	v_rcp_iflag_f32_e32 v1, s2
	s_abs_i32 s83, s13
	s_sub_co_i32 s34, 0, s77
	s_cvt_u32_f32 s0, s0
	s_mul_f32 s1, s1, 0x4f7ffffe
	s_cvt_f32_u32 s42, s83
	s_and_b32 s81, s84, 0xffff
	v_nop
	v_readfirstlane_b32 s35, v1
	s_mul_i32 s34, s34, s0
	s_cvt_u32_f32 s1, s1
	s_mul_hi_u32 s2, s0, s34
	s_sub_co_i32 s34, 0, s78
	v_rcp_iflag_f32_e32 v1, s42
	s_mul_i32 s43, s34, s1
	s_add_co_i32 s34, s0, s2
	s_mul_f32 s2, s35, 0x4f7ffffe
	s_mul_hi_u32 s0, s1, s43
	s_abs_i32 s84, s14
	s_add_co_i32 s42, s1, s0
	s_cvt_u32_f32 s0, s2
	s_cvt_f32_u32 s2, s84
	v_nop
	v_readfirstlane_b32 s1, v1
	s_sub_co_i32 s44, 0, s80
	s_cvt_f32_u32 s45, s86
	v_rcp_iflag_f32_e32 v1, s2
	s_mul_i32 s44, s44, s0
	s_mul_f32 s1, s1, 0x4f7ffffe
	s_mul_hi_u32 s2, s0, s44
	s_ashr_i32 s87, s14, 31
	s_add_co_i32 s44, s0, s2
	s_cvt_u32_f32 s0, s1
	v_nop
	v_readfirstlane_b32 s1, v1
	v_rcp_iflag_f32_e32 v1, s45
	s_sub_co_i32 s2, 0, s83
	s_ashr_i32 s88, s15, 31
	s_mul_i32 s2, s2, s0
	s_mul_f32 s1, s1, 0x4f7ffffe
	s_mul_hi_u32 s2, s0, s2
	s_wait_kmcnt 0x0
	s_mul_u64 s[14:15], s[58:59], s[72:73]
	v_nop
	v_readfirstlane_b32 s68, v1
	s_add_co_i32 s46, s0, s2
	s_cvt_u32_f32 s0, s1
	s_sub_co_i32 s1, 0, s84
	s_ashr_i32 s82, s6, 31
	s_mul_f32 s2, s68, 0x4f7ffffe
	s_mul_i32 s1, s1, s0
	s_mov_b32 s35, s3
	s_mul_hi_u32 s1, s0, s1
	s_cvt_u32_f32 s2, s2
	s_add_co_i32 s68, s0, s1
	s_sub_co_i32 s0, 0, s86
	s_mov_b32 s43, s3
	s_mul_i32 s0, s0, s2
	s_mov_b32 s45, s3
	s_mul_hi_u32 s89, s2, s0
	s_mul_u64 s[0:1], s[54:55], s[70:71]
	s_lshl_b64 s[54:55], s[14:15], 2
	s_lshl_b64 s[0:1], s[0:1], 2
	s_ashr_i32 s13, s13, 31
	s_add_nc_u64 s[0:1], s[0:1], s[54:55]
	s_mov_b32 s47, s3
	s_mov_b32 s69, s3
	s_add_co_i32 s14, s2, s89
	s_mov_b32 s15, s3
	s_add_nc_u64 s[22:23], s[22:23], s[0:1]
	s_lshl_b64 s[54:55], s[56:57], 2
	s_lshl_b64 s[52:53], s[52:53], 2
	s_mov_b32 s89, 0
	s_lshl_b64 s[50:51], s[50:51], 2
	s_lshl_b64 s[48:49], s[48:49], 2
	s_branch .LBB69_3
.LBB69_2:                               ;   in Loop: Header=BB69_3 Depth=1
	s_delay_alu instid0(VALU_DEP_1) | instskip(SKIP_1) | instid1(VALU_DEP_1)
	v_cvt_f32_f64_e32 v1, v[4:5]
	v_add_nc_u32_e32 v0, s81, v0
	v_cmp_le_i32_e32 vcc_lo, s7, v0
	s_or_b32 s89, vcc_lo, s89
	global_store_b32 v[6:7], v1, off
	s_wait_xcnt 0x0
	s_and_not1_b32 exec_lo, exec_lo, s89
	s_cbranch_execz .LBB69_36
.LBB69_3:                               ; =>This Loop Header: Depth=1
                                        ;     Child Loop BB69_6 Depth 2
                                        ;       Child Loop BB69_9 Depth 3
                                        ;         Child Loop BB69_18 Depth 4
                                        ;           Child Loop BB69_25 Depth 5
	v_dual_sub_nc_u32 v1, 0, v0 :: v_dual_ashrrev_i32 v10, 31, v0
	s_delay_alu instid0(VALU_DEP_1) | instskip(NEXT) | instid1(VALU_DEP_1)
	v_max_i32_e32 v2, v0, v1
	v_mul_u64_e32 v[4:5], s[34:35], v[2:3]
	s_delay_alu instid0(VALU_DEP_1) | instskip(SKIP_1) | instid1(VALU_DEP_2)
	v_mul_lo_u32 v1, v5, s77
	v_add_nc_u32_e32 v4, 1, v5
	v_sub_nc_u32_e32 v1, v2, v1
	s_delay_alu instid0(VALU_DEP_1) | instskip(SKIP_1) | instid1(VALU_DEP_4)
	v_subrev_nc_u32_e32 v6, s77, v1
	v_cmp_le_u32_e32 vcc_lo, s77, v1
	v_cndmask_b32_e32 v4, v5, v4, vcc_lo
	s_delay_alu instid0(VALU_DEP_3) | instskip(SKIP_1) | instid1(VALU_DEP_3)
	v_cndmask_b32_e32 v1, v1, v6, vcc_lo
	v_mul_u64_e32 v[8:9], s[44:45], v[2:3]
	v_add_nc_u32_e32 v5, 1, v4
	s_delay_alu instid0(VALU_DEP_3) | instskip(NEXT) | instid1(VALU_DEP_2)
	v_cmp_le_u32_e32 vcc_lo, s77, v1
	v_dual_cndmask_b32 v1, v4, v5, vcc_lo :: v_dual_bitop2_b32 v6, s82, v10 bitop3:0x14
	s_delay_alu instid0(VALU_DEP_1) | instskip(NEXT) | instid1(VALU_DEP_1)
	v_dual_mov_b32 v5, v3 :: v_dual_bitop2_b32 v1, v1, v6 bitop3:0x14
	v_sub_nc_u32_e32 v1, v1, v6
	s_delay_alu instid0(VALU_DEP_1) | instskip(NEXT) | instid1(VALU_DEP_1)
	v_sub_nc_u32_e32 v4, 0, v1
	v_max_i32_e32 v4, v1, v4
	s_delay_alu instid0(VALU_DEP_1) | instskip(SKIP_1) | instid1(VALU_DEP_1)
	v_mul_u64_e32 v[6:7], s[42:43], v[4:5]
	v_mul_lo_u32 v6, v9, s80
	v_dual_sub_nc_u32 v2, v2, v6 :: v_dual_add_nc_u32 v6, 1, v9
	s_delay_alu instid0(VALU_DEP_1) | instskip(NEXT) | instid1(VALU_DEP_4)
	v_cmp_le_u32_e32 vcc_lo, s80, v2
	v_mul_lo_u32 v5, v7, s78
	v_subrev_nc_u32_e32 v7, s80, v2
	s_delay_alu instid0(VALU_DEP_1) | instskip(SKIP_1) | instid1(VALU_DEP_2)
	v_dual_cndmask_b32 v2, v2, v7, vcc_lo :: v_dual_sub_nc_u32 v4, v4, v5
	v_mul_lo_u32 v8, v1, s6
	v_subrev_nc_u32_e32 v5, s78, v4
	v_cmp_le_u32_e64 s0, s78, v4
	s_delay_alu instid0(VALU_DEP_1) | instskip(SKIP_1) | instid1(VALU_DEP_2)
	v_dual_cndmask_b32 v4, v4, v5, s0 :: v_dual_cndmask_b32 v5, v9, v6, vcc_lo
	v_xor_b32_e32 v9, s85, v10
	v_subrev_nc_u32_e32 v6, s78, v4
	v_cmp_le_u32_e32 vcc_lo, s78, v4
	s_delay_alu instid0(VALU_DEP_2) | instskip(SKIP_2) | instid1(VALU_DEP_1)
	v_dual_cndmask_b32 v4, v4, v6 :: v_dual_add_nc_u32 v7, 1, v5
	v_cmp_le_u32_e32 vcc_lo, s80, v2
	v_dual_ashrrev_i32 v1, 31, v1 :: v_dual_sub_nc_u32 v6, v0, v8
	v_dual_cndmask_b32 v2, v5, v7, vcc_lo :: v_dual_bitop2_b32 v4, v4, v1 bitop3:0x14
	s_and_not1_b32 vcc_lo, exec_lo, s33
	s_delay_alu instid0(VALU_DEP_1) | instskip(NEXT) | instid1(VALU_DEP_2)
	v_xor_b32_e32 v2, v2, v9
	v_sub_nc_u32_e32 v8, v4, v1
	s_delay_alu instid0(VALU_DEP_2)
	v_sub_nc_u32_e32 v10, v2, v9
	s_cbranch_vccnz .LBB69_33
; %bb.4:                                ;   in Loop: Header=BB69_3 Depth=1
	v_mov_b64_e32 v[4:5], 0
	s_delay_alu instid0(VALU_DEP_2)
	v_dual_add_nc_u32 v1, s19, v10 :: v_dual_add_nc_u32 v7, s28, v8
	v_add_nc_u32_e32 v9, s29, v6
	s_mov_b32 s2, 0
	s_mov_b64 s[0:1], s[22:23]
	s_branch .LBB69_6
.LBB69_5:                               ;   in Loop: Header=BB69_6 Depth=2
	s_add_co_i32 s2, s2, 1
	s_add_nc_u64 s[0:1], s[0:1], s[54:55]
	s_cmp_eq_u32 s2, s8
	s_cbranch_scc1 .LBB69_34
.LBB69_6:                               ;   Parent Loop BB69_3 Depth=1
                                        ; =>  This Loop Header: Depth=2
                                        ;       Child Loop BB69_9 Depth 3
                                        ;         Child Loop BB69_18 Depth 4
                                        ;           Child Loop BB69_25 Depth 5
	s_and_not1_b32 vcc_lo, exec_lo, s74
	s_cbranch_vccnz .LBB69_5
; %bb.7:                                ;   in Loop: Header=BB69_6 Depth=2
	s_mul_u64 s[56:57], s[66:67], s[2:3]
	s_mov_b32 s90, 0
	s_lshl_b64 s[56:57], s[56:57], 2
	s_mov_b64 s[58:59], s[0:1]
	s_add_nc_u64 s[56:57], s[20:21], s[56:57]
	s_branch .LBB69_9
.LBB69_8:                               ;   in Loop: Header=BB69_9 Depth=3
	s_add_co_i32 s90, s90, 1
	s_add_nc_u64 s[58:59], s[58:59], s[52:53]
	s_cmp_eq_u32 s90, s30
	s_cbranch_scc1 .LBB69_5
.LBB69_9:                               ;   Parent Loop BB69_3 Depth=1
                                        ;     Parent Loop BB69_6 Depth=2
                                        ; =>    This Loop Header: Depth=3
                                        ;         Child Loop BB69_18 Depth 4
                                        ;           Child Loop BB69_25 Depth 5
	s_mul_i32 s70, s16, s90
	s_mov_b32 s71, exec_lo
	v_subrev_nc_u32_e32 v15, s70, v1
	s_mov_b32 s70, 0
                                        ; implicit-def: $vgpr13
                                        ; implicit-def: $vgpr12
                                        ; implicit-def: $vgpr14
	s_delay_alu instid0(VALU_DEP_1) | instskip(NEXT) | instid1(VALU_DEP_1)
	v_dual_sub_nc_u32 v2, 0, v15 :: v_dual_ashrrev_i32 v11, 31, v15
	v_max_i32_e32 v2, v15, v2
	v_cmpx_lt_i32_e32 -1, v15
	s_xor_b32 s71, exec_lo, s71
	s_cbranch_execnz .LBB69_13
; %bb.10:                               ;   in Loop: Header=BB69_9 Depth=3
	s_and_not1_saveexec_b32 s71, s71
	s_cbranch_execnz .LBB69_14
.LBB69_11:                              ;   in Loop: Header=BB69_9 Depth=3
	s_or_b32 exec_lo, exec_lo, s71
	v_mov_b32_e32 v2, 1
	s_and_saveexec_b32 s71, s70
	s_cbranch_execnz .LBB69_15
.LBB69_12:                              ;   in Loop: Header=BB69_9 Depth=3
	s_or_b32 exec_lo, exec_lo, s71
	s_delay_alu instid0(SALU_CYCLE_1)
	s_and_not1_b32 vcc_lo, exec_lo, s75
	s_cbranch_vccz .LBB69_16
	s_branch .LBB69_8
.LBB69_13:                              ;   in Loop: Header=BB69_9 Depth=3
	s_delay_alu instid0(VALU_DEP_2) | instskip(NEXT) | instid1(VALU_DEP_1)
	v_mul_u64_e32 v[12:13], s[46:47], v[2:3]
	v_mul_lo_u32 v11, v13, s83
	s_delay_alu instid0(VALU_DEP_1) | instskip(SKIP_1) | instid1(VALU_DEP_2)
	v_sub_nc_u32_e32 v12, v2, v11
	v_ashrrev_i32_e32 v11, 31, v15
	v_subrev_nc_u32_e32 v14, s83, v12
	v_cmp_le_u32_e32 vcc_lo, s83, v12
	s_delay_alu instid0(VALU_DEP_2) | instskip(NEXT) | instid1(VALU_DEP_1)
	v_cndmask_b32_e32 v2, v12, v14, vcc_lo
	v_subrev_nc_u32_e32 v16, s83, v2
	v_cmp_le_u32_e32 vcc_lo, s83, v2
	s_delay_alu instid0(VALU_DEP_2) | instskip(NEXT) | instid1(VALU_DEP_1)
	v_cndmask_b32_e32 v2, v2, v16, vcc_lo
	v_xor_b32_e32 v2, v2, v11
	s_delay_alu instid0(VALU_DEP_1) | instskip(NEXT) | instid1(VALU_DEP_1)
	v_sub_nc_u32_e32 v2, v2, v11
	v_cmp_ne_u32_e32 vcc_lo, 0, v2
	s_and_b32 s70, vcc_lo, exec_lo
	s_and_not1_saveexec_b32 s71, s71
	s_cbranch_execz .LBB69_11
.LBB69_14:                              ;   in Loop: Header=BB69_9 Depth=3
	v_mul_u64_e32 v[12:13], s[46:47], v[2:3]
	s_or_b32 s70, s70, exec_lo
	s_delay_alu instid0(VALU_DEP_1) | instskip(NEXT) | instid1(VALU_DEP_1)
	v_mul_lo_u32 v12, v13, s83
	v_sub_nc_u32_e32 v12, v2, v12
	s_delay_alu instid0(VALU_DEP_1)
	v_subrev_nc_u32_e32 v14, s83, v12
	s_or_b32 exec_lo, exec_lo, s71
	v_mov_b32_e32 v2, 1
	s_and_saveexec_b32 s71, s70
	s_cbranch_execz .LBB69_12
.LBB69_15:                              ;   in Loop: Header=BB69_9 Depth=3
	v_mov_b32_e32 v2, 0
	s_or_b32 exec_lo, exec_lo, s71
	s_delay_alu instid0(SALU_CYCLE_1)
	s_and_not1_b32 vcc_lo, exec_lo, s75
	s_cbranch_vccnz .LBB69_8
.LBB69_16:                              ;   in Loop: Header=BB69_9 Depth=3
	v_cmp_le_u32_e32 vcc_lo, s83, v12
	v_add_nc_u32_e32 v15, 1, v13
	s_mov_b32 s91, 0
	s_mov_b64 s[70:71], s[58:59]
	v_dual_cndmask_b32 v12, v12, v14, vcc_lo :: v_dual_bitop2_b32 v11, s13, v11 bitop3:0x14
	s_delay_alu instid0(VALU_DEP_2) | instskip(NEXT) | instid1(VALU_DEP_2)
	v_cndmask_b32_e32 v13, v13, v15, vcc_lo
	v_cmp_le_u32_e32 vcc_lo, s83, v12
	s_delay_alu instid0(VALU_DEP_2) | instskip(NEXT) | instid1(VALU_DEP_1)
	v_add_nc_u32_e32 v14, 1, v13
	v_cndmask_b32_e32 v12, v13, v14, vcc_lo
	s_delay_alu instid0(VALU_DEP_1) | instskip(NEXT) | instid1(VALU_DEP_1)
	v_xor_b32_e32 v12, v12, v11
	v_sub_nc_u32_e32 v12, v12, v11
	s_delay_alu instid0(VALU_DEP_1) | instskip(SKIP_1) | instid1(VALU_DEP_2)
	v_ashrrev_i32_e32 v13, 31, v12
	v_cmp_gt_i32_e32 vcc_lo, s10, v12
	v_mul_u64_e32 v[14:15], s[64:65], v[12:13]
	v_cndmask_b32_e32 v11, 0, v2, vcc_lo
	s_delay_alu instid0(VALU_DEP_2)
	v_lshl_add_u64 v[12:13], v[14:15], 2, s[56:57]
	s_branch .LBB69_18
.LBB69_17:                              ;   in Loop: Header=BB69_18 Depth=4
	s_add_co_i32 s91, s91, 1
	s_add_nc_u64 s[70:71], s[70:71], s[50:51]
	s_cmp_eq_u32 s91, s31
	s_cbranch_scc1 .LBB69_8
.LBB69_18:                              ;   Parent Loop BB69_3 Depth=1
                                        ;     Parent Loop BB69_6 Depth=2
                                        ;       Parent Loop BB69_9 Depth=3
                                        ; =>      This Loop Header: Depth=4
                                        ;           Child Loop BB69_25 Depth 5
	s_mul_i32 s72, s17, s91
	s_delay_alu instid0(SALU_CYCLE_1) | instskip(NEXT) | instid1(VALU_DEP_1)
	v_subrev_nc_u32_e32 v2, s72, v7
	v_dual_sub_nc_u32 v15, 0, v2 :: v_dual_ashrrev_i32 v14, 31, v2
	v_cmp_gt_i32_e64 s72, 0, v2
	v_cmp_lt_i32_e32 vcc_lo, -1, v2
	s_delay_alu instid0(VALU_DEP_3)
	v_max_i32_e32 v2, v2, v15
	s_and_saveexec_b32 s73, vcc_lo
	s_cbranch_execnz .LBB69_21
; %bb.19:                               ;   in Loop: Header=BB69_18 Depth=4
	s_or_b32 exec_lo, exec_lo, s73
	v_mov_b32_e32 v15, 1
	s_and_saveexec_b32 s73, s72
	s_cbranch_execnz .LBB69_22
.LBB69_20:                              ;   in Loop: Header=BB69_18 Depth=4
	s_or_b32 exec_lo, exec_lo, s73
	s_delay_alu instid0(SALU_CYCLE_1)
	s_and_not1_b32 vcc_lo, exec_lo, s76
	s_cbranch_vccz .LBB69_23
	s_branch .LBB69_17
.LBB69_21:                              ;   in Loop: Header=BB69_18 Depth=4
	s_delay_alu instid0(VALU_DEP_1) | instskip(SKIP_1) | instid1(VALU_DEP_1)
	v_mul_u64_e32 v[16:17], s[68:69], v[2:3]
	s_and_not1_b32 s72, s72, exec_lo
	v_mul_lo_u32 v15, v17, s84
	s_delay_alu instid0(VALU_DEP_1) | instskip(NEXT) | instid1(VALU_DEP_1)
	v_sub_nc_u32_e32 v15, v2, v15
	v_subrev_nc_u32_e32 v16, s84, v15
	v_cmp_le_u32_e32 vcc_lo, s84, v15
	s_delay_alu instid0(VALU_DEP_2) | instskip(NEXT) | instid1(VALU_DEP_1)
	v_cndmask_b32_e32 v15, v15, v16, vcc_lo
	v_subrev_nc_u32_e32 v16, s84, v15
	v_cmp_le_u32_e32 vcc_lo, s84, v15
	s_delay_alu instid0(VALU_DEP_2) | instskip(NEXT) | instid1(VALU_DEP_1)
	v_cndmask_b32_e32 v15, v15, v16, vcc_lo
	v_xor_b32_e32 v15, v15, v14
	s_delay_alu instid0(VALU_DEP_1) | instskip(NEXT) | instid1(VALU_DEP_1)
	v_sub_nc_u32_e32 v15, v15, v14
	v_cmp_ne_u32_e32 vcc_lo, 0, v15
	s_and_b32 s92, vcc_lo, exec_lo
	s_delay_alu instid0(SALU_CYCLE_1)
	s_or_b32 s72, s72, s92
	s_or_b32 exec_lo, exec_lo, s73
	v_mov_b32_e32 v15, 1
	s_and_saveexec_b32 s73, s72
	s_cbranch_execz .LBB69_20
.LBB69_22:                              ;   in Loop: Header=BB69_18 Depth=4
	v_mov_b32_e32 v15, 0
	s_or_b32 exec_lo, exec_lo, s73
	s_delay_alu instid0(SALU_CYCLE_1)
	s_and_not1_b32 vcc_lo, exec_lo, s76
	s_cbranch_vccnz .LBB69_17
.LBB69_23:                              ;   in Loop: Header=BB69_18 Depth=4
	v_mul_u64_e32 v[16:17], s[68:69], v[2:3]
	s_mov_b64 s[72:73], s[70:71]
	s_mov_b32 s92, s9
	v_dual_mov_b32 v19, v9 :: v_dual_bitop2_b32 v14, s87, v14 bitop3:0x14
	s_delay_alu instid0(VALU_DEP_2) | instskip(NEXT) | instid1(VALU_DEP_1)
	v_mul_lo_u32 v16, v17, s84
	v_dual_sub_nc_u32 v2, v2, v16 :: v_dual_add_nc_u32 v16, 1, v17
	s_delay_alu instid0(VALU_DEP_1) | instskip(SKIP_1) | instid1(VALU_DEP_2)
	v_subrev_nc_u32_e32 v18, s84, v2
	v_cmp_le_u32_e32 vcc_lo, s84, v2
	v_dual_cndmask_b32 v16, v17, v16, vcc_lo :: v_dual_cndmask_b32 v2, v2, v18, vcc_lo
	s_delay_alu instid0(VALU_DEP_1) | instskip(NEXT) | instid1(VALU_DEP_2)
	v_add_nc_u32_e32 v17, 1, v16
	v_cmp_le_u32_e32 vcc_lo, s84, v2
	s_delay_alu instid0(VALU_DEP_2) | instskip(NEXT) | instid1(VALU_DEP_1)
	v_cndmask_b32_e32 v2, v16, v17, vcc_lo
	v_xor_b32_e32 v2, v2, v14
	s_delay_alu instid0(VALU_DEP_1) | instskip(NEXT) | instid1(VALU_DEP_1)
	v_sub_nc_u32_e32 v16, v2, v14
	v_cmp_gt_i32_e32 vcc_lo, s11, v16
	v_dual_cndmask_b32 v2, 0, v15 :: v_dual_ashrrev_i32 v17, 31, v16
	s_delay_alu instid0(VALU_DEP_1) | instskip(NEXT) | instid1(VALU_DEP_2)
	v_and_b32_e32 v18, v2, v11
	v_mul_u64_e32 v[20:21], s[62:63], v[16:17]
	s_delay_alu instid0(VALU_DEP_1)
	v_lshl_add_u64 v[14:15], v[20:21], 2, v[12:13]
	s_branch .LBB69_25
.LBB69_24:                              ;   in Loop: Header=BB69_25 Depth=5
	s_or_b32 exec_lo, exec_lo, s93
	v_subrev_nc_u32_e32 v19, s18, v19
	s_add_co_i32 s92, s92, -1
	s_add_nc_u64 s[72:73], s[72:73], s[48:49]
	s_cmp_eq_u32 s92, 0
	s_cbranch_scc1 .LBB69_17
.LBB69_25:                              ;   Parent Loop BB69_3 Depth=1
                                        ;     Parent Loop BB69_6 Depth=2
                                        ;       Parent Loop BB69_9 Depth=3
                                        ;         Parent Loop BB69_18 Depth=4
                                        ; =>        This Inner Loop Header: Depth=5
	v_dual_sub_nc_u32 v2, 0, v19 :: v_dual_ashrrev_i32 v20, 31, v19
	s_mov_b32 s93, 0
	s_mov_b32 s94, exec_lo
                                        ; implicit-def: $vgpr17
                                        ; implicit-def: $vgpr16
                                        ; implicit-def: $vgpr21
	s_delay_alu instid0(VALU_DEP_1)
	v_max_i32_e32 v2, v19, v2
	v_cmpx_lt_i32_e32 -1, v19
	s_xor_b32 s94, exec_lo, s94
	s_cbranch_execnz .LBB69_31
; %bb.26:                               ;   in Loop: Header=BB69_25 Depth=5
	s_and_not1_saveexec_b32 s94, s94
	s_cbranch_execnz .LBB69_32
.LBB69_27:                              ;   in Loop: Header=BB69_25 Depth=5
	s_or_b32 exec_lo, exec_lo, s94
	v_mov_b32_e32 v2, 1
	s_and_saveexec_b32 s94, s93
.LBB69_28:                              ;   in Loop: Header=BB69_25 Depth=5
	v_mov_b32_e32 v2, 0
.LBB69_29:                              ;   in Loop: Header=BB69_25 Depth=5
	s_or_b32 exec_lo, exec_lo, s94
	v_add_nc_u32_e32 v22, 1, v17
	v_cmp_le_u32_e32 vcc_lo, s86, v16
	s_mov_b32 s93, exec_lo
	s_delay_alu instid0(VALU_DEP_2) | instskip(NEXT) | instid1(VALU_DEP_1)
	v_dual_cndmask_b32 v17, v17, v22 :: v_dual_cndmask_b32 v16, v16, v21
	v_add_nc_u32_e32 v21, 1, v17
	s_delay_alu instid0(VALU_DEP_2) | instskip(NEXT) | instid1(VALU_DEP_2)
	v_cmp_le_u32_e32 vcc_lo, s86, v16
	v_dual_cndmask_b32 v16, v17, v21, vcc_lo :: v_dual_bitop2_b32 v20, s88, v20 bitop3:0x14
	s_delay_alu instid0(VALU_DEP_1) | instskip(NEXT) | instid1(VALU_DEP_1)
	v_xor_b32_e32 v16, v16, v20
	v_sub_nc_u32_e32 v16, v16, v20
	s_delay_alu instid0(VALU_DEP_1) | instskip(SKIP_1) | instid1(VALU_DEP_1)
	v_cmp_gt_i32_e32 vcc_lo, s12, v16
	v_cndmask_b32_e32 v2, 0, v2, vcc_lo
	v_and_b32_e32 v2, v18, v2
	s_delay_alu instid0(VALU_DEP_1) | instskip(NEXT) | instid1(VALU_DEP_1)
	v_and_b32_e32 v2, 1, v2
	v_cmpx_eq_u32_e32 1, v2
	s_cbranch_execz .LBB69_24
; %bb.30:                               ;   in Loop: Header=BB69_25 Depth=5
	v_ashrrev_i32_e32 v17, 31, v16
	s_load_b32 s94, s[72:73], 0x0
	s_delay_alu instid0(VALU_DEP_1) | instskip(SKIP_2) | instid1(VALU_DEP_2)
	v_mul_u64_e32 v[16:17], s[60:61], v[16:17]
	s_wait_kmcnt 0x0
	v_cvt_f64_f32_e32 v[20:21], s94
	v_lshl_add_u64 v[16:17], v[16:17], 2, v[14:15]
	global_load_b32 v2, v[16:17], off
	s_wait_loadcnt 0x0
	s_wait_xcnt 0x0
	v_cvt_f64_f32_e32 v[16:17], v2
	s_delay_alu instid0(VALU_DEP_1)
	v_fmac_f64_e32 v[4:5], v[16:17], v[20:21]
	s_branch .LBB69_24
.LBB69_31:                              ;   in Loop: Header=BB69_25 Depth=5
	s_delay_alu instid0(VALU_DEP_2) | instskip(SKIP_1) | instid1(VALU_DEP_2)
	v_mul_u64_e32 v[16:17], s[14:15], v[2:3]
	v_ashrrev_i32_e32 v20, 31, v19
	v_mul_lo_u32 v16, v17, s86
	s_delay_alu instid0(VALU_DEP_1) | instskip(NEXT) | instid1(VALU_DEP_1)
	v_sub_nc_u32_e32 v16, v2, v16
	v_subrev_nc_u32_e32 v21, s86, v16
	v_cmp_le_u32_e32 vcc_lo, s86, v16
	s_delay_alu instid0(VALU_DEP_2) | instskip(NEXT) | instid1(VALU_DEP_1)
	v_cndmask_b32_e32 v2, v16, v21, vcc_lo
	v_subrev_nc_u32_e32 v22, s86, v2
	v_cmp_le_u32_e32 vcc_lo, s86, v2
	s_delay_alu instid0(VALU_DEP_2) | instskip(NEXT) | instid1(VALU_DEP_1)
	v_cndmask_b32_e32 v2, v2, v22, vcc_lo
	v_xor_b32_e32 v2, v2, v20
	s_delay_alu instid0(VALU_DEP_1) | instskip(NEXT) | instid1(VALU_DEP_1)
	v_sub_nc_u32_e32 v2, v2, v20
	v_cmp_ne_u32_e32 vcc_lo, 0, v2
	s_and_b32 s93, vcc_lo, exec_lo
	s_and_not1_saveexec_b32 s94, s94
	s_cbranch_execz .LBB69_27
.LBB69_32:                              ;   in Loop: Header=BB69_25 Depth=5
	v_mul_u64_e32 v[16:17], s[14:15], v[2:3]
	s_or_b32 s93, s93, exec_lo
	s_delay_alu instid0(VALU_DEP_1) | instskip(NEXT) | instid1(VALU_DEP_1)
	v_mul_lo_u32 v16, v17, s86
	v_sub_nc_u32_e32 v16, v2, v16
	s_delay_alu instid0(VALU_DEP_1)
	v_subrev_nc_u32_e32 v21, s86, v16
	s_or_b32 exec_lo, exec_lo, s94
	v_mov_b32_e32 v2, 1
	s_and_saveexec_b32 s94, s93
	s_cbranch_execnz .LBB69_28
	s_branch .LBB69_29
.LBB69_33:                              ;   in Loop: Header=BB69_3 Depth=1
	v_mov_b64_e32 v[4:5], 0
.LBB69_34:                              ;   in Loop: Header=BB69_3 Depth=1
	s_delay_alu instid0(VALU_DEP_2) | instskip(SKIP_2) | instid1(VALU_DEP_2)
	v_dual_ashrrev_i32 v11, 31, v10 :: v_dual_ashrrev_i32 v9, 31, v8
	v_ashrrev_i32_e32 v7, 31, v6
	s_and_not1_b32 vcc_lo, exec_lo, s79
	v_mul_u64_e32 v[10:11], s[40:41], v[10:11]
	s_delay_alu instid0(VALU_DEP_3) | instskip(NEXT) | instid1(VALU_DEP_3)
	v_mul_u64_e32 v[8:9], s[38:39], v[8:9]
	v_mul_u64_e32 v[6:7], s[36:37], v[6:7]
	s_delay_alu instid0(VALU_DEP_3) | instskip(NEXT) | instid1(VALU_DEP_1)
	v_lshl_add_u64 v[10:11], v[10:11], 2, s[4:5]
	v_lshl_add_u64 v[8:9], v[8:9], 2, v[10:11]
	s_delay_alu instid0(VALU_DEP_1)
	v_lshl_add_u64 v[6:7], v[6:7], 2, v[8:9]
	s_cbranch_vccnz .LBB69_2
; %bb.35:                               ;   in Loop: Header=BB69_3 Depth=1
	global_load_b32 v1, v[6:7], off
	s_wait_loadcnt 0x0
	v_cvt_f64_f32_e32 v[8:9], v1
	s_delay_alu instid0(VALU_DEP_1) | instskip(NEXT) | instid1(VALU_DEP_1)
	v_mul_f64_e32 v[8:9], s[26:27], v[8:9]
	v_fmac_f64_e32 v[8:9], s[24:25], v[4:5]
	s_delay_alu instid0(VALU_DEP_1)
	v_mov_b64_e32 v[4:5], v[8:9]
	s_branch .LBB69_2
.LBB69_36:
	s_endpgm
	.section	.rodata,"a",@progbits
	.p2align	6, 0x0
	.amdhsa_kernel naive_conv_ab_nonpacked_bwd_ncdhw_float_double_float
		.amdhsa_group_segment_fixed_size 0
		.amdhsa_private_segment_fixed_size 0
		.amdhsa_kernarg_size 528
		.amdhsa_user_sgpr_count 2
		.amdhsa_user_sgpr_dispatch_ptr 0
		.amdhsa_user_sgpr_queue_ptr 0
		.amdhsa_user_sgpr_kernarg_segment_ptr 1
		.amdhsa_user_sgpr_dispatch_id 0
		.amdhsa_user_sgpr_kernarg_preload_length 0
		.amdhsa_user_sgpr_kernarg_preload_offset 0
		.amdhsa_user_sgpr_private_segment_size 0
		.amdhsa_wavefront_size32 1
		.amdhsa_uses_dynamic_stack 0
		.amdhsa_enable_private_segment 0
		.amdhsa_system_sgpr_workgroup_id_x 1
		.amdhsa_system_sgpr_workgroup_id_y 0
		.amdhsa_system_sgpr_workgroup_id_z 0
		.amdhsa_system_sgpr_workgroup_info 0
		.amdhsa_system_vgpr_workitem_id 0
		.amdhsa_next_free_vgpr 23
		.amdhsa_next_free_sgpr 95
		.amdhsa_named_barrier_count 0
		.amdhsa_reserve_vcc 1
		.amdhsa_float_round_mode_32 0
		.amdhsa_float_round_mode_16_64 0
		.amdhsa_float_denorm_mode_32 3
		.amdhsa_float_denorm_mode_16_64 3
		.amdhsa_fp16_overflow 0
		.amdhsa_memory_ordered 1
		.amdhsa_forward_progress 1
		.amdhsa_inst_pref_size 22
		.amdhsa_round_robin_scheduling 0
		.amdhsa_exception_fp_ieee_invalid_op 0
		.amdhsa_exception_fp_denorm_src 0
		.amdhsa_exception_fp_ieee_div_zero 0
		.amdhsa_exception_fp_ieee_overflow 0
		.amdhsa_exception_fp_ieee_underflow 0
		.amdhsa_exception_fp_ieee_inexact 0
		.amdhsa_exception_int_div_zero 0
	.end_amdhsa_kernel
	.text
.Lfunc_end69:
	.size	naive_conv_ab_nonpacked_bwd_ncdhw_float_double_float, .Lfunc_end69-naive_conv_ab_nonpacked_bwd_ncdhw_float_double_float
                                        ; -- End function
	.set naive_conv_ab_nonpacked_bwd_ncdhw_float_double_float.num_vgpr, 23
	.set naive_conv_ab_nonpacked_bwd_ncdhw_float_double_float.num_agpr, 0
	.set naive_conv_ab_nonpacked_bwd_ncdhw_float_double_float.numbered_sgpr, 95
	.set naive_conv_ab_nonpacked_bwd_ncdhw_float_double_float.num_named_barrier, 0
	.set naive_conv_ab_nonpacked_bwd_ncdhw_float_double_float.private_seg_size, 0
	.set naive_conv_ab_nonpacked_bwd_ncdhw_float_double_float.uses_vcc, 1
	.set naive_conv_ab_nonpacked_bwd_ncdhw_float_double_float.uses_flat_scratch, 0
	.set naive_conv_ab_nonpacked_bwd_ncdhw_float_double_float.has_dyn_sized_stack, 0
	.set naive_conv_ab_nonpacked_bwd_ncdhw_float_double_float.has_recursion, 0
	.set naive_conv_ab_nonpacked_bwd_ncdhw_float_double_float.has_indirect_call, 0
	.section	.AMDGPU.csdata,"",@progbits
; Kernel info:
; codeLenInByte = 2720
; TotalNumSgprs: 97
; NumVgprs: 23
; ScratchSize: 0
; MemoryBound: 0
; FloatMode: 240
; IeeeMode: 1
; LDSByteSize: 0 bytes/workgroup (compile time only)
; SGPRBlocks: 0
; VGPRBlocks: 1
; NumSGPRsForWavesPerEU: 97
; NumVGPRsForWavesPerEU: 23
; NamedBarCnt: 0
; Occupancy: 16
; WaveLimiterHint : 1
; COMPUTE_PGM_RSRC2:SCRATCH_EN: 0
; COMPUTE_PGM_RSRC2:USER_SGPR: 2
; COMPUTE_PGM_RSRC2:TRAP_HANDLER: 0
; COMPUTE_PGM_RSRC2:TGID_X_EN: 1
; COMPUTE_PGM_RSRC2:TGID_Y_EN: 0
; COMPUTE_PGM_RSRC2:TGID_Z_EN: 0
; COMPUTE_PGM_RSRC2:TIDIG_COMP_CNT: 0
	.text
	.protected	naive_conv_ab_packed_bwd_ncdhw_half_double_half ; -- Begin function naive_conv_ab_packed_bwd_ncdhw_half_double_half
	.globl	naive_conv_ab_packed_bwd_ncdhw_half_double_half
	.p2align	8
	.type	naive_conv_ab_packed_bwd_ncdhw_half_double_half,@function
naive_conv_ab_packed_bwd_ncdhw_half_double_half: ; @naive_conv_ab_packed_bwd_ncdhw_half_double_half
; %bb.0:
	s_load_b512 s[4:19], s[0:1], 0xb8
	s_bfe_u32 s2, ttmp6, 0x4000c
	s_and_b32 s3, ttmp6, 15
	s_add_co_i32 s2, s2, 1
	s_getreg_b32 s20, hwreg(HW_REG_IB_STS2, 6, 4)
	s_mul_i32 s2, ttmp9, s2
	s_mov_b32 s26, exec_lo
	s_add_co_i32 s3, s3, s2
	s_cmp_eq_u32 s20, 0
	s_cselect_b32 s20, ttmp9, s3
	s_wait_kmcnt 0x0
	s_abs_i32 s3, s9
	s_mul_i32 s48, s6, s5
	s_cvt_f32_u32 s2, s3
	s_mul_i32 s33, s48, s4
	s_delay_alu instid0(SALU_CYCLE_2) | instskip(SKIP_1) | instid1(TRANS32_DEP_1)
	v_rcp_iflag_f32_e32 v1, s2
	v_nop
	v_readfirstlane_b32 s2, v1
	s_mul_f32 s2, s2, 0x4f7ffffe
	s_delay_alu instid0(SALU_CYCLE_3) | instskip(SKIP_1) | instid1(SALU_CYCLE_2)
	s_cvt_u32_f32 s21, s2
	s_sub_co_i32 s2, 0, s3
	s_mul_i32 s2, s2, s21
	s_delay_alu instid0(SALU_CYCLE_1) | instskip(SKIP_2) | instid1(SALU_CYCLE_1)
	s_mul_hi_u32 s22, s21, s2
	s_abs_i32 s2, s20
	s_add_co_i32 s21, s21, s22
	s_mul_hi_u32 s21, s2, s21
	s_delay_alu instid0(SALU_CYCLE_1) | instskip(SKIP_2) | instid1(SALU_CYCLE_1)
	s_mul_i32 s22, s21, s3
	s_add_co_i32 s23, s21, 1
	s_sub_co_i32 s22, s2, s22
	s_sub_co_i32 s24, s22, s3
	s_cmp_ge_u32 s22, s3
	s_cselect_b32 s21, s23, s21
	s_cselect_b32 s22, s24, s22
	s_add_co_i32 s23, s21, 1
	s_cmp_ge_u32 s22, s3
	s_mul_i32 s22, s9, s7
	s_cselect_b32 s24, s23, s21
	s_abs_i32 s21, s7
	s_abs_i32 s7, s22
	s_cvt_f32_u32 s3, s21
	s_cvt_f32_u32 s23, s7
	s_delay_alu instid0(SALU_CYCLE_2) | instskip(NEXT) | instid1(SALU_CYCLE_2)
	v_rcp_iflag_f32_e32 v1, s3
	v_rcp_iflag_f32_e32 v2, s23
	s_mov_b32 s3, 0
	s_delay_alu instid0(TRANS32_DEP_2) | instskip(NEXT) | instid1(TRANS32_DEP_1)
	v_readfirstlane_b32 s25, v1
	v_readfirstlane_b32 s23, v2
	v_cmpx_gt_i32_e64 s33, v0
	s_cbranch_execz .LBB70_38
; %bb.1:
	s_ashr_i32 s30, s20, 31
	s_ashr_i32 s53, s9, 31
	s_mul_f32 s25, s25, 0x4f7ffffe
	s_xor_b32 s26, s30, s53
	s_mul_f32 s23, s23, 0x4f7ffffe
	s_xor_b32 s24, s24, s26
	s_cvt_u32_f32 s25, s25
	s_sub_co_i32 s28, s24, s26
	s_sub_co_i32 s24, 0, s21
	s_cvt_u32_f32 s23, s23
	s_mul_i32 s24, s24, s25
	s_sub_co_i32 s29, 0, s7
	s_mul_hi_u32 s26, s25, s24
	s_abs_i32 s24, s28
	s_add_co_i32 s26, s25, s26
	s_mov_b32 s25, s3
	s_mov_b32 s27, s3
	s_mul_i32 s29, s29, s23
	s_mul_u64 s[26:27], s[24:25], s[26:27]
	s_mul_hi_u32 s25, s23, s29
	s_ashr_i32 s26, s22, 31
	s_add_co_i32 s22, s23, s25
	s_mul_i32 s23, s27, s21
	s_ashr_i32 s31, s28, 31
	s_mul_i32 s28, s28, s9
	s_sub_co_i32 s23, s24, s23
	s_sub_co_i32 s54, s20, s28
	;; [unrolled: 1-line block ×3, first 2 shown]
	s_cmp_ge_u32 s23, s21
	s_clause 0x1
	s_load_b64 s[34:35], s[0:1], 0x108
	s_load_b32 s49, s[0:1], 0x11c
	s_cselect_b32 s20, s20, s23
	s_mov_b32 s44, s4
	s_sub_co_i32 s23, s20, s21
	s_cmp_ge_u32 s20, s21
	s_mov_b32 s52, s9
	s_cselect_b32 s20, s23, s20
	s_mov_b32 s23, s3
	s_xor_b32 s20, s20, s31
	s_mul_u64 s[28:29], s[2:3], s[22:23]
	s_sub_co_i32 s40, s20, s31
	s_mul_i32 s20, s29, s7
	s_xor_b32 s38, s30, s26
	s_sub_co_i32 s2, s2, s20
	s_add_co_i32 s28, s29, 1
	s_sub_co_i32 s30, s2, s7
	s_cmp_ge_u32 s2, s7
	s_load_b256 s[20:27], s[0:1], 0x0
	s_cselect_b32 s36, s28, s29
	s_cselect_b32 s2, s30, s2
	s_add_co_i32 s37, s36, 1
	s_cmp_ge_u32 s2, s7
	s_load_b128 s[28:31], s[0:1], 0xf8
	s_cselect_b32 s2, s37, s36
	s_wait_kmcnt 0x0
	s_mul_i32 s36, s35, s9
	s_xor_b32 s2, s2, s38
	s_ashr_i32 s41, s40, 31
	s_ashr_i32 s37, s36, 31
	s_sub_co_i32 s38, s2, s38
	s_mul_u64 s[42:43], s[40:41], s[36:37]
	s_ashr_i32 s45, s4, 31
	s_ashr_i32 s37, s5, 31
	s_mov_b32 s36, s5
	s_ashr_i32 s39, s38, 31
	s_ashr_i32 s55, s54, 31
	;; [unrolled: 1-line block ×3, first 2 shown]
	s_mul_u64 s[46:47], s[38:39], s[52:53]
	s_add_nc_u64 s[42:43], s[42:43], s[54:55]
	s_mul_u64 s[44:45], s[36:37], s[44:45]
	s_add_nc_u64 s[42:43], s[42:43], s[46:47]
	s_mul_u64 s[44:45], s[44:45], s[6:7]
	s_mul_i32 s46, s35, s8
	s_mul_u64 s[42:43], s[44:45], s[42:43]
	s_ashr_i32 s47, s46, 31
	s_ashr_i32 s9, s8, 31
	s_lshl_b64 s[50:51], s[42:43], 1
	s_mul_u64 s[44:45], s[40:41], s[46:47]
	s_ashr_i32 s41, s10, 31
	s_mov_b32 s40, s10
	s_ashr_i32 s43, s11, 31
	s_mov_b32 s42, s11
	;; [unrolled: 2-line block ×3, first 2 shown]
	v_cmp_neq_f64_e64 s2, s[24:25], 1.0
	v_cmp_neq_f64_e64 s12, s[26:27], 0
	s_mul_u64 s[56:57], s[38:39], s[8:9]
	s_mul_u64 s[46:47], s[42:43], s[40:41]
	s_add_nc_u64 s[58:59], s[56:57], s[44:45]
	s_mul_u64 s[46:47], s[46:47], s[10:11]
	s_ashr_i32 s35, s34, 31
	s_mul_u64 s[46:47], s[46:47], s[58:59]
	s_load_b64 s[58:59], s[0:1], 0x20
	s_ashr_i32 s39, s30, 31
	s_ashr_i32 s45, s31, 31
	s_lshl_b64 s[46:47], s[46:47], 1
	s_cmp_gt_i32 s8, 0
	s_mov_b32 s44, s31
	s_cselect_b32 s9, -1, 0
	s_cmp_gt_i32 s30, 0
	s_mov_b32 s38, s30
	s_cselect_b32 s37, -1, 0
	s_cmp_gt_i32 s31, 0
	v_mov_b32_e32 v3, 0
	s_cselect_b32 s66, -1, 0
	s_cmp_gt_i32 s34, 0
	s_cselect_b32 s67, -1, 0
	s_abs_i32 s68, s6
	s_abs_i32 s69, s5
	s_wait_xcnt 0x0
	s_cvt_f32_u32 s0, s68
	s_abs_i32 s70, s48
	s_add_nc_u64 s[4:5], s[20:21], s[50:51]
	s_abs_i32 s73, s13
	v_rcp_iflag_f32_e32 v1, s0
	s_cvt_f32_u32 s0, s69
	s_wait_kmcnt 0x0
	s_add_nc_u64 s[20:21], s[58:59], s[46:47]
	s_or_b32 s71, s2, s12
	s_cvt_f32_u32 s2, s70
	v_rcp_iflag_f32_e32 v2, s0
	s_cvt_f32_u32 s47, s73
	v_readfirstlane_b32 s50, v1
	v_rcp_iflag_f32_e32 v1, s2
	s_and_b32 s72, s49, 0xffff
	s_abs_i32 s74, s14
	s_abs_i32 s76, s15
	v_readfirstlane_b32 s31, v2
	s_mul_f32 s30, s50, 0x4f7ffffe
	s_sub_co_i32 s50, 0, s70
	s_ashr_i32 s75, s48, 31
	s_ashr_i32 s77, s13, 31
	s_mul_f32 s31, s31, 0x4f7ffffe
	s_cvt_u32_f32 s12, s30
	s_sub_co_i32 s30, 0, s68
	s_sub_co_i32 s51, 0, s74
	s_cvt_u32_f32 s46, s31
	v_readfirstlane_b32 s31, v1
	s_mul_i32 s30, s30, s12
	v_rcp_iflag_f32_e32 v1, s47
	s_mul_hi_u32 s2, s12, s30
	s_sub_co_i32 s30, 0, s69
	s_mul_u64 s[0:1], s[56:57], s[52:53]
	s_mul_i32 s49, s30, s46
	s_add_co_i32 s30, s12, s2
	s_mul_f32 s12, s31, 0x4f7ffffe
	s_mul_hi_u32 s2, s46, s49
	s_cvt_f32_u32 s49, s74
	s_add_co_i32 s46, s46, s2
	s_cvt_u32_f32 s2, s12
	v_nop
	v_readfirstlane_b32 s12, v1
	v_rcp_iflag_f32_e32 v1, s49
	s_cvt_f32_u32 s49, s76
	s_mul_i32 s50, s50, s2
	s_ashr_i32 s78, s14, 31
	s_mul_f32 s12, s12, 0x4f7ffffe
	s_mul_hi_u32 s48, s2, s50
	s_sub_co_i32 s50, 0, s73
	s_add_co_i32 s48, s2, s48
	s_cvt_u32_f32 s2, s12
	v_nop
	v_readfirstlane_b32 s12, v1
	v_rcp_iflag_f32_e32 v1, s49
	s_mul_u64 s[56:57], s[34:35], s[44:45]
	s_mul_i32 s50, s50, s2
	s_add_nc_u64 s[0:1], s[0:1], s[54:55]
	s_mul_f32 s13, s12, 0x4f7ffffe
	s_mul_hi_u32 s12, s2, s50
	s_mul_u64 s[54:55], s[56:57], s[38:39]
	v_nop
	v_readfirstlane_b32 s50, v1
	s_add_co_i32 s12, s2, s12
	s_cvt_u32_f32 s2, s13
	s_mul_u64 s[0:1], s[54:55], s[0:1]
	v_mov_b32_e32 v1, 0x7e00
	s_mul_f32 s50, s50, 0x4f7ffffe
	s_mul_i32 s51, s51, s2
	s_lshl_b64 s[0:1], s[0:1], 1
	s_mul_hi_u32 s14, s2, s51
	s_cvt_u32_f32 s58, s50
	s_add_co_i32 s50, s2, s14
	s_sub_co_i32 s2, 0, s76
	s_mul_u64 s[52:53], s[54:55], s[52:53]
	s_mul_i32 s2, s2, s58
	s_mov_b32 s31, s3
	s_mul_hi_u32 s2, s58, s2
	s_mov_b32 s47, s3
	s_mov_b32 s49, s3
	;; [unrolled: 1-line block ×4, first 2 shown]
	s_ashr_i32 s79, s15, 31
	s_add_co_i32 s14, s58, s2
	s_mov_b32 s15, s3
	s_add_nc_u64 s[22:23], s[22:23], s[0:1]
	s_lshl_b64 s[52:53], s[52:53], 1
	s_lshl_b64 s[54:55], s[56:57], 1
	;; [unrolled: 1-line block ×3, first 2 shown]
	s_mov_b32 s35, 0
	s_branch .LBB70_3
.LBB70_2:                               ;   in Loop: Header=BB70_3 Depth=1
	v_add_nc_u32_e32 v0, s72, v0
	s_delay_alu instid0(VALU_DEP_1)
	v_cmp_le_i32_e32 vcc_lo, s33, v0
	s_or_b32 s35, vcc_lo, s35
	s_wait_xcnt 0x0
	s_and_not1_b32 exec_lo, exec_lo, s35
	s_cbranch_execz .LBB70_38
.LBB70_3:                               ; =>This Loop Header: Depth=1
                                        ;     Child Loop BB70_6 Depth 2
                                        ;       Child Loop BB70_9 Depth 3
                                        ;         Child Loop BB70_18 Depth 4
                                        ;           Child Loop BB70_25 Depth 5
	v_dual_sub_nc_u32 v2, 0, v0 :: v_dual_ashrrev_i32 v10, 31, v0
	s_delay_alu instid0(VALU_DEP_1) | instskip(NEXT) | instid1(VALU_DEP_1)
	v_max_i32_e32 v2, v0, v2
	v_mul_u64_e32 v[4:5], s[30:31], v[2:3]
	v_mul_u64_e32 v[8:9], s[48:49], v[2:3]
	s_delay_alu instid0(VALU_DEP_2) | instskip(NEXT) | instid1(VALU_DEP_1)
	v_mul_lo_u32 v4, v5, s68
	v_dual_add_nc_u32 v6, 1, v5 :: v_dual_sub_nc_u32 v4, v2, v4
	s_delay_alu instid0(VALU_DEP_1) | instskip(NEXT) | instid1(VALU_DEP_2)
	v_cmp_le_u32_e32 vcc_lo, s68, v4
	v_cndmask_b32_e32 v5, v5, v6, vcc_lo
	v_subrev_nc_u32_e32 v7, s68, v4
	s_delay_alu instid0(VALU_DEP_1) | instskip(SKIP_1) | instid1(VALU_DEP_2)
	v_dual_add_nc_u32 v6, 1, v5 :: v_dual_cndmask_b32 v4, v4, v7, vcc_lo
	v_xor_b32_e32 v7, s7, v10
	v_cmp_le_u32_e32 vcc_lo, s68, v4
	s_delay_alu instid0(VALU_DEP_3) | instskip(NEXT) | instid1(VALU_DEP_1)
	v_dual_cndmask_b32 v4, v5, v6 :: v_dual_mov_b32 v5, v3
	v_xor_b32_e32 v4, v4, v7
	s_delay_alu instid0(VALU_DEP_1) | instskip(NEXT) | instid1(VALU_DEP_1)
	v_sub_nc_u32_e32 v11, v4, v7
	v_sub_nc_u32_e32 v4, 0, v11
	s_delay_alu instid0(VALU_DEP_1) | instskip(NEXT) | instid1(VALU_DEP_1)
	v_max_i32_e32 v4, v11, v4
	v_mul_u64_e32 v[6:7], s[46:47], v[4:5]
	v_mul_lo_u32 v6, v9, s70
	s_delay_alu instid0(VALU_DEP_1) | instskip(NEXT) | instid1(VALU_DEP_1)
	v_dual_sub_nc_u32 v2, v2, v6 :: v_dual_add_nc_u32 v6, 1, v9
	v_cmp_le_u32_e32 vcc_lo, s70, v2
	s_delay_alu instid0(VALU_DEP_4) | instskip(SKIP_1) | instid1(VALU_DEP_1)
	v_mul_lo_u32 v5, v7, s69
	v_subrev_nc_u32_e32 v7, s70, v2
	v_dual_cndmask_b32 v2, v2, v7, vcc_lo :: v_dual_sub_nc_u32 v4, v4, v5
	v_mul_lo_u32 v8, v11, s6
	s_delay_alu instid0(VALU_DEP_2) | instskip(SKIP_1) | instid1(VALU_DEP_1)
	v_subrev_nc_u32_e32 v5, s69, v4
	v_cmp_le_u32_e64 s0, s69, v4
	v_dual_cndmask_b32 v4, v4, v5, s0 :: v_dual_cndmask_b32 v5, v9, v6, vcc_lo
	v_dual_ashrrev_i32 v10, 31, v11 :: v_dual_bitop2_b32 v9, s75, v10 bitop3:0x14
	s_delay_alu instid0(VALU_DEP_2) | instskip(SKIP_1) | instid1(VALU_DEP_2)
	v_subrev_nc_u32_e32 v6, s69, v4
	v_cmp_le_u32_e32 vcc_lo, s69, v4
	v_dual_cndmask_b32 v4, v4, v6 :: v_dual_add_nc_u32 v7, 1, v5
	v_cmp_le_u32_e32 vcc_lo, s70, v2
	s_delay_alu instid0(VALU_DEP_2) | instskip(SKIP_1) | instid1(VALU_DEP_1)
	v_dual_sub_nc_u32 v6, v0, v8 :: v_dual_cndmask_b32 v2, v5, v7, vcc_lo
	s_and_not1_b32 vcc_lo, exec_lo, s9
	v_xor_b32_e32 v2, v2, v9
	s_delay_alu instid0(VALU_DEP_1) | instskip(NEXT) | instid1(VALU_DEP_1)
	v_dual_sub_nc_u32 v7, v2, v9 :: v_dual_bitop2_b32 v4, v4, v10 bitop3:0x14
	v_sub_nc_u32_e32 v8, v4, v10
	s_cbranch_vccnz .LBB70_33
; %bb.4:                                ;   in Loop: Header=BB70_3 Depth=1
	v_mov_b64_e32 v[4:5], 0
	s_delay_alu instid0(VALU_DEP_2)
	v_dual_add_nc_u32 v9, s19, v7 :: v_dual_add_nc_u32 v16, s28, v8
	v_add_nc_u32_e32 v17, s29, v6
	s_mov_b32 s2, 0
	s_mov_b64 s[0:1], s[22:23]
	s_branch .LBB70_6
.LBB70_5:                               ;   in Loop: Header=BB70_6 Depth=2
	s_add_co_i32 s2, s2, 1
	s_add_nc_u64 s[0:1], s[0:1], s[52:53]
	s_cmp_eq_u32 s2, s8
	s_cbranch_scc1 .LBB70_34
.LBB70_6:                               ;   Parent Loop BB70_3 Depth=1
                                        ; =>  This Loop Header: Depth=2
                                        ;       Child Loop BB70_9 Depth 3
                                        ;         Child Loop BB70_18 Depth 4
                                        ;           Child Loop BB70_25 Depth 5
	s_and_not1_b32 vcc_lo, exec_lo, s37
	s_cbranch_vccnz .LBB70_5
; %bb.7:                                ;   in Loop: Header=BB70_6 Depth=2
	s_mul_u64 s[58:59], s[2:3], s[40:41]
	s_mov_b32 s39, 0
	s_mov_b64 s[60:61], s[0:1]
	s_branch .LBB70_9
.LBB70_8:                               ;   in Loop: Header=BB70_9 Depth=3
	s_add_co_i32 s39, s39, 1
	s_add_nc_u64 s[60:61], s[60:61], s[54:55]
	s_cmp_eq_u32 s39, s38
	s_cbranch_scc1 .LBB70_5
.LBB70_9:                               ;   Parent Loop BB70_3 Depth=1
                                        ;     Parent Loop BB70_6 Depth=2
                                        ; =>    This Loop Header: Depth=3
                                        ;         Child Loop BB70_18 Depth 4
                                        ;           Child Loop BB70_25 Depth 5
	s_mul_i32 s45, s16, s39
	s_mov_b32 s62, exec_lo
	v_subrev_nc_u32_e32 v14, s45, v9
	s_mov_b32 s45, 0
                                        ; implicit-def: $vgpr11
                                        ; implicit-def: $vgpr10
                                        ; implicit-def: $vgpr13
	s_delay_alu instid0(VALU_DEP_1) | instskip(NEXT) | instid1(VALU_DEP_1)
	v_dual_sub_nc_u32 v2, 0, v14 :: v_dual_ashrrev_i32 v12, 31, v14
	v_max_i32_e32 v2, v14, v2
	v_cmpx_lt_i32_e32 -1, v14
	s_xor_b32 s62, exec_lo, s62
	s_cbranch_execnz .LBB70_13
; %bb.10:                               ;   in Loop: Header=BB70_9 Depth=3
	s_and_not1_saveexec_b32 s62, s62
	s_cbranch_execnz .LBB70_14
.LBB70_11:                              ;   in Loop: Header=BB70_9 Depth=3
	s_or_b32 exec_lo, exec_lo, s62
	v_mov_b32_e32 v2, 1
	s_and_saveexec_b32 s62, s45
	s_cbranch_execnz .LBB70_15
.LBB70_12:                              ;   in Loop: Header=BB70_9 Depth=3
	s_or_b32 exec_lo, exec_lo, s62
	s_delay_alu instid0(SALU_CYCLE_1)
	s_and_not1_b32 vcc_lo, exec_lo, s66
	s_cbranch_vccz .LBB70_16
	s_branch .LBB70_8
.LBB70_13:                              ;   in Loop: Header=BB70_9 Depth=3
	s_delay_alu instid0(VALU_DEP_2) | instskip(SKIP_1) | instid1(VALU_DEP_2)
	v_mul_u64_e32 v[10:11], s[12:13], v[2:3]
	v_ashrrev_i32_e32 v12, 31, v14
	v_mul_lo_u32 v10, v11, s73
	s_delay_alu instid0(VALU_DEP_1) | instskip(NEXT) | instid1(VALU_DEP_1)
	v_sub_nc_u32_e32 v10, v2, v10
	v_subrev_nc_u32_e32 v13, s73, v10
	v_cmp_le_u32_e32 vcc_lo, s73, v10
	s_delay_alu instid0(VALU_DEP_2) | instskip(NEXT) | instid1(VALU_DEP_1)
	v_cndmask_b32_e32 v2, v10, v13, vcc_lo
	v_subrev_nc_u32_e32 v15, s73, v2
	v_cmp_le_u32_e32 vcc_lo, s73, v2
	s_delay_alu instid0(VALU_DEP_2) | instskip(NEXT) | instid1(VALU_DEP_1)
	v_cndmask_b32_e32 v2, v2, v15, vcc_lo
	v_xor_b32_e32 v2, v2, v12
	s_delay_alu instid0(VALU_DEP_1) | instskip(NEXT) | instid1(VALU_DEP_1)
	v_sub_nc_u32_e32 v2, v2, v12
	v_cmp_ne_u32_e32 vcc_lo, 0, v2
	s_and_b32 s45, vcc_lo, exec_lo
	s_and_not1_saveexec_b32 s62, s62
	s_cbranch_execz .LBB70_11
.LBB70_14:                              ;   in Loop: Header=BB70_9 Depth=3
	v_mul_u64_e32 v[10:11], s[12:13], v[2:3]
	s_or_b32 s45, s45, exec_lo
	s_delay_alu instid0(VALU_DEP_1) | instskip(NEXT) | instid1(VALU_DEP_1)
	v_mul_lo_u32 v10, v11, s73
	v_sub_nc_u32_e32 v10, v2, v10
	s_delay_alu instid0(VALU_DEP_1)
	v_subrev_nc_u32_e32 v13, s73, v10
	s_or_b32 exec_lo, exec_lo, s62
	v_mov_b32_e32 v2, 1
	s_and_saveexec_b32 s62, s45
	s_cbranch_execz .LBB70_12
.LBB70_15:                              ;   in Loop: Header=BB70_9 Depth=3
	v_mov_b32_e32 v2, 0
	s_or_b32 exec_lo, exec_lo, s62
	s_delay_alu instid0(SALU_CYCLE_1)
	s_and_not1_b32 vcc_lo, exec_lo, s66
	s_cbranch_vccnz .LBB70_8
.LBB70_16:                              ;   in Loop: Header=BB70_9 Depth=3
	v_cmp_le_u32_e32 vcc_lo, s73, v10
	v_add_nc_u32_e32 v14, 1, v11
	s_mov_b32 s45, 0
	s_mov_b64 s[62:63], s[60:61]
	v_dual_cndmask_b32 v10, v10, v13, vcc_lo :: v_dual_bitop2_b32 v12, s77, v12 bitop3:0x14
	s_delay_alu instid0(VALU_DEP_2) | instskip(NEXT) | instid1(VALU_DEP_2)
	v_cndmask_b32_e32 v11, v11, v14, vcc_lo
	v_cmp_le_u32_e32 vcc_lo, s73, v10
	s_delay_alu instid0(VALU_DEP_2) | instskip(NEXT) | instid1(VALU_DEP_1)
	v_add_nc_u32_e32 v13, 1, v11
	v_cndmask_b32_e32 v10, v11, v13, vcc_lo
	s_delay_alu instid0(VALU_DEP_1) | instskip(NEXT) | instid1(VALU_DEP_1)
	v_xor_b32_e32 v10, v10, v12
	v_sub_nc_u32_e32 v12, v10, v12
	s_delay_alu instid0(VALU_DEP_1) | instskip(SKIP_1) | instid1(VALU_DEP_1)
	v_cmp_gt_i32_e32 vcc_lo, s40, v12
	v_dual_cndmask_b32 v18, 0, v2 :: v_dual_ashrrev_i32 v13, 31, v12
	v_add_nc_u64_e32 v[10:11], s[58:59], v[12:13]
	s_delay_alu instid0(VALU_DEP_1)
	v_mul_u64_e32 v[10:11], s[42:43], v[10:11]
	s_branch .LBB70_18
.LBB70_17:                              ;   in Loop: Header=BB70_18 Depth=4
	s_add_co_i32 s45, s45, 1
	s_add_nc_u64 s[62:63], s[62:63], s[56:57]
	s_cmp_eq_u32 s45, s44
	s_cbranch_scc1 .LBB70_8
.LBB70_18:                              ;   Parent Loop BB70_3 Depth=1
                                        ;     Parent Loop BB70_6 Depth=2
                                        ;       Parent Loop BB70_9 Depth=3
                                        ; =>      This Loop Header: Depth=4
                                        ;           Child Loop BB70_25 Depth 5
	s_mul_i32 s64, s17, s45
	s_delay_alu instid0(SALU_CYCLE_1) | instskip(NEXT) | instid1(VALU_DEP_1)
	v_subrev_nc_u32_e32 v2, s64, v16
	v_dual_sub_nc_u32 v13, 0, v2 :: v_dual_ashrrev_i32 v12, 31, v2
	v_cmp_gt_i32_e64 s64, 0, v2
	v_cmp_lt_i32_e32 vcc_lo, -1, v2
	s_delay_alu instid0(VALU_DEP_3)
	v_max_i32_e32 v2, v2, v13
	s_and_saveexec_b32 s65, vcc_lo
	s_cbranch_execnz .LBB70_21
; %bb.19:                               ;   in Loop: Header=BB70_18 Depth=4
	s_or_b32 exec_lo, exec_lo, s65
	v_mov_b32_e32 v13, 1
	s_and_saveexec_b32 s65, s64
	s_cbranch_execnz .LBB70_22
.LBB70_20:                              ;   in Loop: Header=BB70_18 Depth=4
	s_or_b32 exec_lo, exec_lo, s65
	s_delay_alu instid0(SALU_CYCLE_1)
	s_and_not1_b32 vcc_lo, exec_lo, s67
	s_cbranch_vccz .LBB70_23
	s_branch .LBB70_17
.LBB70_21:                              ;   in Loop: Header=BB70_18 Depth=4
	s_delay_alu instid0(VALU_DEP_1) | instskip(SKIP_1) | instid1(VALU_DEP_1)
	v_mul_u64_e32 v[14:15], s[50:51], v[2:3]
	s_and_not1_b32 s64, s64, exec_lo
	v_mul_lo_u32 v13, v15, s74
	s_delay_alu instid0(VALU_DEP_1) | instskip(NEXT) | instid1(VALU_DEP_1)
	v_sub_nc_u32_e32 v13, v2, v13
	v_subrev_nc_u32_e32 v14, s74, v13
	v_cmp_le_u32_e32 vcc_lo, s74, v13
	s_delay_alu instid0(VALU_DEP_2) | instskip(NEXT) | instid1(VALU_DEP_1)
	v_cndmask_b32_e32 v13, v13, v14, vcc_lo
	v_subrev_nc_u32_e32 v14, s74, v13
	v_cmp_le_u32_e32 vcc_lo, s74, v13
	s_delay_alu instid0(VALU_DEP_2) | instskip(NEXT) | instid1(VALU_DEP_1)
	v_cndmask_b32_e32 v13, v13, v14, vcc_lo
	v_xor_b32_e32 v13, v13, v12
	s_delay_alu instid0(VALU_DEP_1) | instskip(NEXT) | instid1(VALU_DEP_1)
	v_sub_nc_u32_e32 v13, v13, v12
	v_cmp_ne_u32_e32 vcc_lo, 0, v13
	s_and_b32 s80, vcc_lo, exec_lo
	s_delay_alu instid0(SALU_CYCLE_1)
	s_or_b32 s64, s64, s80
	s_or_b32 exec_lo, exec_lo, s65
	v_mov_b32_e32 v13, 1
	s_and_saveexec_b32 s65, s64
	s_cbranch_execz .LBB70_20
.LBB70_22:                              ;   in Loop: Header=BB70_18 Depth=4
	v_mov_b32_e32 v13, 0
	s_or_b32 exec_lo, exec_lo, s65
	s_delay_alu instid0(SALU_CYCLE_1)
	s_and_not1_b32 vcc_lo, exec_lo, s67
	s_cbranch_vccnz .LBB70_17
.LBB70_23:                              ;   in Loop: Header=BB70_18 Depth=4
	v_mul_u64_e32 v[14:15], s[50:51], v[2:3]
	s_mov_b64 s[64:65], s[62:63]
	s_mov_b32 s80, s34
	v_xor_b32_e32 v12, s78, v12
	s_delay_alu instid0(VALU_DEP_2) | instskip(NEXT) | instid1(VALU_DEP_1)
	v_mul_lo_u32 v14, v15, s74
	v_dual_sub_nc_u32 v2, v2, v14 :: v_dual_add_nc_u32 v14, 1, v15
	s_delay_alu instid0(VALU_DEP_1) | instskip(SKIP_1) | instid1(VALU_DEP_2)
	v_subrev_nc_u32_e32 v19, s74, v2
	v_cmp_le_u32_e32 vcc_lo, s74, v2
	v_dual_cndmask_b32 v14, v15, v14, vcc_lo :: v_dual_cndmask_b32 v2, v2, v19, vcc_lo
	s_delay_alu instid0(VALU_DEP_1) | instskip(NEXT) | instid1(VALU_DEP_2)
	v_add_nc_u32_e32 v15, 1, v14
	v_cmp_le_u32_e32 vcc_lo, s74, v2
	s_delay_alu instid0(VALU_DEP_2) | instskip(NEXT) | instid1(VALU_DEP_1)
	v_cndmask_b32_e32 v2, v14, v15, vcc_lo
	v_xor_b32_e32 v2, v2, v12
	s_delay_alu instid0(VALU_DEP_1) | instskip(NEXT) | instid1(VALU_DEP_1)
	v_sub_nc_u32_e32 v14, v2, v12
	v_cmp_gt_i32_e32 vcc_lo, s42, v14
	v_dual_cndmask_b32 v2, 0, v13 :: v_dual_ashrrev_i32 v15, 31, v14
	s_delay_alu instid0(VALU_DEP_1) | instskip(NEXT) | instid1(VALU_DEP_2)
	v_and_b32_e32 v19, v2, v18
	v_add_nc_u64_e32 v[20:21], v[10:11], v[14:15]
	s_delay_alu instid0(VALU_DEP_1) | instskip(NEXT) | instid1(VALU_DEP_1)
	v_mul_u64_e32 v[20:21], s[10:11], v[20:21]
	v_lshl_add_u64 v[12:13], v[20:21], 1, s[20:21]
	v_mov_b32_e32 v20, v17
	s_branch .LBB70_25
.LBB70_24:                              ;   in Loop: Header=BB70_25 Depth=5
	s_wait_xcnt 0x0
	s_or_b32 exec_lo, exec_lo, s81
	v_subrev_nc_u32_e32 v20, s18, v20
	s_add_co_i32 s80, s80, -1
	s_add_nc_u64 s[64:65], s[64:65], 2
	s_cmp_eq_u32 s80, 0
	s_cbranch_scc1 .LBB70_17
.LBB70_25:                              ;   Parent Loop BB70_3 Depth=1
                                        ;     Parent Loop BB70_6 Depth=2
                                        ;       Parent Loop BB70_9 Depth=3
                                        ;         Parent Loop BB70_18 Depth=4
                                        ; =>        This Inner Loop Header: Depth=5
	s_delay_alu instid0(VALU_DEP_1) | instskip(SKIP_2) | instid1(VALU_DEP_1)
	v_dual_sub_nc_u32 v2, 0, v20 :: v_dual_ashrrev_i32 v21, 31, v20
	s_mov_b32 s81, 0
	s_mov_b32 s82, exec_lo
                                        ; implicit-def: $vgpr15
                                        ; implicit-def: $vgpr14
                                        ; implicit-def: $vgpr22
	v_max_i32_e32 v2, v20, v2
	v_cmpx_lt_i32_e32 -1, v20
	s_xor_b32 s82, exec_lo, s82
	s_cbranch_execnz .LBB70_31
; %bb.26:                               ;   in Loop: Header=BB70_25 Depth=5
	s_and_not1_saveexec_b32 s82, s82
	s_cbranch_execnz .LBB70_32
.LBB70_27:                              ;   in Loop: Header=BB70_25 Depth=5
	s_or_b32 exec_lo, exec_lo, s82
	v_mov_b32_e32 v2, 1
	s_and_saveexec_b32 s82, s81
.LBB70_28:                              ;   in Loop: Header=BB70_25 Depth=5
	v_mov_b32_e32 v2, 0
.LBB70_29:                              ;   in Loop: Header=BB70_25 Depth=5
	s_or_b32 exec_lo, exec_lo, s82
	v_cmp_le_u32_e32 vcc_lo, s76, v14
	v_add_nc_u32_e32 v23, 1, v15
	s_mov_b32 s81, exec_lo
	v_dual_cndmask_b32 v14, v14, v22, vcc_lo :: v_dual_bitop2_b32 v21, s79, v21 bitop3:0x14
	s_delay_alu instid0(VALU_DEP_2) | instskip(NEXT) | instid1(VALU_DEP_2)
	v_cndmask_b32_e32 v15, v15, v23, vcc_lo
	v_cmp_le_u32_e32 vcc_lo, s76, v14
	s_delay_alu instid0(VALU_DEP_2) | instskip(NEXT) | instid1(VALU_DEP_1)
	v_add_nc_u32_e32 v22, 1, v15
	v_cndmask_b32_e32 v14, v15, v22, vcc_lo
	s_delay_alu instid0(VALU_DEP_1) | instskip(NEXT) | instid1(VALU_DEP_1)
	v_xor_b32_e32 v14, v14, v21
	v_sub_nc_u32_e32 v14, v14, v21
	s_delay_alu instid0(VALU_DEP_1) | instskip(SKIP_1) | instid1(VALU_DEP_1)
	v_cmp_gt_i32_e32 vcc_lo, s10, v14
	v_cndmask_b32_e32 v2, 0, v2, vcc_lo
	v_and_b32_e32 v2, v19, v2
	s_delay_alu instid0(VALU_DEP_1) | instskip(NEXT) | instid1(VALU_DEP_1)
	v_and_b32_e32 v2, 1, v2
	v_cmpx_eq_u32_e32 1, v2
	s_cbranch_execz .LBB70_24
; %bb.30:                               ;   in Loop: Header=BB70_25 Depth=5
	v_ashrrev_i32_e32 v15, 31, v14
	s_delay_alu instid0(VALU_DEP_1)
	v_lshl_add_u64 v[14:15], v[14:15], 1, v[12:13]
	global_load_u16 v2, v[14:15], off
	global_load_u16 v14, v3, s[64:65]
	s_wait_loadcnt 0x1
	v_cvt_f32_f16_e32 v2, v2
	s_wait_loadcnt 0x0
	v_cvt_f32_f16_e32 v21, v14
	s_delay_alu instid0(VALU_DEP_2) | instskip(NEXT) | instid1(VALU_DEP_2)
	v_cvt_f64_f32_e32 v[14:15], v2
	v_cvt_f64_f32_e32 v[22:23], v21
	s_delay_alu instid0(VALU_DEP_1)
	v_fmac_f64_e32 v[4:5], v[14:15], v[22:23]
	s_branch .LBB70_24
.LBB70_31:                              ;   in Loop: Header=BB70_25 Depth=5
	s_delay_alu instid0(VALU_DEP_2) | instskip(SKIP_1) | instid1(VALU_DEP_2)
	v_mul_u64_e32 v[14:15], s[14:15], v[2:3]
	v_ashrrev_i32_e32 v21, 31, v20
	v_mul_lo_u32 v14, v15, s76
	s_delay_alu instid0(VALU_DEP_1) | instskip(NEXT) | instid1(VALU_DEP_1)
	v_sub_nc_u32_e32 v14, v2, v14
	v_subrev_nc_u32_e32 v22, s76, v14
	v_cmp_le_u32_e32 vcc_lo, s76, v14
	s_delay_alu instid0(VALU_DEP_2) | instskip(NEXT) | instid1(VALU_DEP_1)
	v_cndmask_b32_e32 v2, v14, v22, vcc_lo
	v_subrev_nc_u32_e32 v23, s76, v2
	v_cmp_le_u32_e32 vcc_lo, s76, v2
	s_delay_alu instid0(VALU_DEP_2) | instskip(NEXT) | instid1(VALU_DEP_1)
	v_cndmask_b32_e32 v2, v2, v23, vcc_lo
	v_xor_b32_e32 v2, v2, v21
	s_delay_alu instid0(VALU_DEP_1) | instskip(NEXT) | instid1(VALU_DEP_1)
	v_sub_nc_u32_e32 v2, v2, v21
	v_cmp_ne_u32_e32 vcc_lo, 0, v2
	s_and_b32 s81, vcc_lo, exec_lo
	s_and_not1_saveexec_b32 s82, s82
	s_cbranch_execz .LBB70_27
.LBB70_32:                              ;   in Loop: Header=BB70_25 Depth=5
	v_mul_u64_e32 v[14:15], s[14:15], v[2:3]
	s_or_b32 s81, s81, exec_lo
	s_delay_alu instid0(VALU_DEP_1) | instskip(NEXT) | instid1(VALU_DEP_1)
	v_mul_lo_u32 v14, v15, s76
	v_sub_nc_u32_e32 v14, v2, v14
	s_delay_alu instid0(VALU_DEP_1)
	v_subrev_nc_u32_e32 v22, s76, v14
	s_or_b32 exec_lo, exec_lo, s82
	v_mov_b32_e32 v2, 1
	s_and_saveexec_b32 s82, s81
	s_cbranch_execnz .LBB70_28
	s_branch .LBB70_29
.LBB70_33:                              ;   in Loop: Header=BB70_3 Depth=1
	v_mov_b64_e32 v[4:5], 0
.LBB70_34:                              ;   in Loop: Header=BB70_3 Depth=1
	s_delay_alu instid0(VALU_DEP_2) | instskip(SKIP_2) | instid1(VALU_DEP_1)
	v_ashrrev_i32_e32 v9, 31, v8
	s_and_b32 vcc_lo, exec_lo, s71
	s_mov_b32 s0, -1
	v_mad_nc_i64_i32 v[8:9], v7, s36, v[8:9]
	v_ashrrev_i32_e32 v7, 31, v6
	s_delay_alu instid0(VALU_DEP_1) | instskip(NEXT) | instid1(VALU_DEP_1)
	v_mad_nc_u64_u32 v[6:7], v8, s6, v[6:7]
	v_mad_u32 v2, v9, s6, v7
	s_delay_alu instid0(VALU_DEP_1) | instskip(NEXT) | instid1(VALU_DEP_1)
	v_mad_u32 v7, v8, s7, v2
	v_lshl_add_u64 v[6:7], v[6:7], 1, s[4:5]
	s_cbranch_vccz .LBB70_36
; %bb.35:                               ;   in Loop: Header=BB70_3 Depth=1
	global_load_u16 v2, v[6:7], off
	s_mov_b32 s0, 0
	s_wait_loadcnt 0x0
	v_cvt_f32_f16_e32 v2, v2
	s_delay_alu instid0(VALU_DEP_1) | instskip(NEXT) | instid1(VALU_DEP_1)
	v_cvt_f64_f32_e32 v[8:9], v2
	v_mul_f64_e32 v[8:9], s[26:27], v[8:9]
	s_delay_alu instid0(VALU_DEP_1) | instskip(NEXT) | instid1(VALU_DEP_1)
	v_fmac_f64_e32 v[8:9], s[24:25], v[4:5]
	v_and_or_b32 v2, 0x1ff, v9, v8
	v_lshrrev_b32_e32 v8, 8, v9
	v_bfe_u32 v10, v9, 20, 11
	s_delay_alu instid0(VALU_DEP_3) | instskip(NEXT) | instid1(VALU_DEP_2)
	v_cmp_ne_u32_e32 vcc_lo, 0, v2
	v_sub_nc_u32_e32 v11, 0x3f1, v10
	v_add_nc_u32_e32 v10, 0xfffffc10, v10
	v_cndmask_b32_e64 v2, 0, 1, vcc_lo
	s_delay_alu instid0(VALU_DEP_1) | instskip(NEXT) | instid1(VALU_DEP_4)
	v_and_or_b32 v2, 0xffe, v8, v2
	v_med3_i32 v8, v11, 0, 13
	s_delay_alu instid0(VALU_DEP_2) | instskip(NEXT) | instid1(VALU_DEP_1)
	v_or_b32_e32 v11, 0x1000, v2
	v_lshrrev_b32_e32 v12, v8, v11
	s_delay_alu instid0(VALU_DEP_1) | instskip(NEXT) | instid1(VALU_DEP_1)
	v_lshlrev_b32_e32 v8, v8, v12
	v_cmp_ne_u32_e32 vcc_lo, v8, v11
	v_lshl_or_b32 v11, v10, 12, v2
	v_cndmask_b32_e64 v8, 0, 1, vcc_lo
	v_cmp_gt_i32_e32 vcc_lo, 1, v10
	s_delay_alu instid0(VALU_DEP_2) | instskip(NEXT) | instid1(VALU_DEP_1)
	v_or_b32_e32 v8, v12, v8
	v_cndmask_b32_e32 v8, v11, v8, vcc_lo
	s_delay_alu instid0(VALU_DEP_1) | instskip(NEXT) | instid1(VALU_DEP_1)
	v_dual_lshrrev_b32 v8, 2, v8 :: v_dual_bitop2_b32 v11, 7, v8 bitop3:0x40
	v_cmp_lt_i32_e32 vcc_lo, 5, v11
	v_cndmask_b32_e64 v12, 0, 1, vcc_lo
	v_cmp_eq_u32_e32 vcc_lo, 3, v11
	v_cndmask_b32_e64 v11, 0, 1, vcc_lo
	v_cmp_ne_u32_e32 vcc_lo, 0, v2
	s_delay_alu instid0(VALU_DEP_2) | instskip(SKIP_2) | instid1(VALU_DEP_3)
	v_or_b32_e32 v11, v11, v12
	v_cndmask_b32_e32 v2, 0x7c00, v1, vcc_lo
	v_cmp_gt_i32_e32 vcc_lo, 31, v10
	v_add_nc_u32_e32 v8, v8, v11
	s_delay_alu instid0(VALU_DEP_1) | instskip(SKIP_1) | instid1(VALU_DEP_2)
	v_cndmask_b32_e32 v8, 0x7c00, v8, vcc_lo
	v_cmp_eq_u32_e32 vcc_lo, 0x40f, v10
	v_dual_cndmask_b32 v2, v8, v2, vcc_lo :: v_dual_lshrrev_b32 v8, 16, v9
	s_delay_alu instid0(VALU_DEP_1)
	v_and_or_b32 v2, 0x8000, v8, v2
	global_store_b16 v[6:7], v2, off
.LBB70_36:                              ;   in Loop: Header=BB70_3 Depth=1
	s_and_not1_b32 vcc_lo, exec_lo, s0
	s_cbranch_vccnz .LBB70_2
; %bb.37:                               ;   in Loop: Header=BB70_3 Depth=1
	s_wait_xcnt 0x0
	v_and_or_b32 v2, 0x1ff, v5, v4
	v_lshrrev_b32_e32 v4, 8, v5
	v_bfe_u32 v8, v5, 20, 11
	s_delay_alu instid0(VALU_DEP_3) | instskip(NEXT) | instid1(VALU_DEP_2)
	v_cmp_ne_u32_e32 vcc_lo, 0, v2
	v_sub_nc_u32_e32 v9, 0x3f1, v8
	v_add_nc_u32_e32 v8, 0xfffffc10, v8
	v_cndmask_b32_e64 v2, 0, 1, vcc_lo
	s_delay_alu instid0(VALU_DEP_1) | instskip(NEXT) | instid1(VALU_DEP_4)
	v_and_or_b32 v2, 0xffe, v4, v2
	v_med3_i32 v4, v9, 0, 13
	s_delay_alu instid0(VALU_DEP_2) | instskip(NEXT) | instid1(VALU_DEP_1)
	v_or_b32_e32 v9, 0x1000, v2
	v_lshrrev_b32_e32 v10, v4, v9
	s_delay_alu instid0(VALU_DEP_1) | instskip(NEXT) | instid1(VALU_DEP_1)
	v_lshlrev_b32_e32 v4, v4, v10
	v_cmp_ne_u32_e32 vcc_lo, v4, v9
	v_lshl_or_b32 v9, v8, 12, v2
	v_cndmask_b32_e64 v4, 0, 1, vcc_lo
	v_cmp_gt_i32_e32 vcc_lo, 1, v8
	s_delay_alu instid0(VALU_DEP_2) | instskip(NEXT) | instid1(VALU_DEP_1)
	v_or_b32_e32 v4, v10, v4
	v_cndmask_b32_e32 v4, v9, v4, vcc_lo
	s_delay_alu instid0(VALU_DEP_1) | instskip(NEXT) | instid1(VALU_DEP_1)
	v_dual_lshrrev_b32 v4, 2, v4 :: v_dual_bitop2_b32 v9, 7, v4 bitop3:0x40
	v_cmp_lt_i32_e32 vcc_lo, 5, v9
	v_cndmask_b32_e64 v10, 0, 1, vcc_lo
	v_cmp_eq_u32_e32 vcc_lo, 3, v9
	v_cndmask_b32_e64 v9, 0, 1, vcc_lo
	v_cmp_ne_u32_e32 vcc_lo, 0, v2
	s_delay_alu instid0(VALU_DEP_2) | instskip(SKIP_2) | instid1(VALU_DEP_3)
	v_or_b32_e32 v9, v9, v10
	v_cndmask_b32_e32 v2, 0x7c00, v1, vcc_lo
	v_cmp_gt_i32_e32 vcc_lo, 31, v8
	v_add_nc_u32_e32 v4, v4, v9
	s_delay_alu instid0(VALU_DEP_1) | instskip(SKIP_1) | instid1(VALU_DEP_2)
	v_cndmask_b32_e32 v4, 0x7c00, v4, vcc_lo
	v_cmp_eq_u32_e32 vcc_lo, 0x40f, v8
	v_dual_cndmask_b32 v2, v4, v2, vcc_lo :: v_dual_lshrrev_b32 v4, 16, v5
	s_delay_alu instid0(VALU_DEP_1)
	v_and_or_b32 v2, 0x8000, v4, v2
	global_store_b16 v[6:7], v2, off
	s_branch .LBB70_2
.LBB70_38:
	s_endpgm
	.section	.rodata,"a",@progbits
	.p2align	6, 0x0
	.amdhsa_kernel naive_conv_ab_packed_bwd_ncdhw_half_double_half
		.amdhsa_group_segment_fixed_size 0
		.amdhsa_private_segment_fixed_size 0
		.amdhsa_kernarg_size 528
		.amdhsa_user_sgpr_count 2
		.amdhsa_user_sgpr_dispatch_ptr 0
		.amdhsa_user_sgpr_queue_ptr 0
		.amdhsa_user_sgpr_kernarg_segment_ptr 1
		.amdhsa_user_sgpr_dispatch_id 0
		.amdhsa_user_sgpr_kernarg_preload_length 0
		.amdhsa_user_sgpr_kernarg_preload_offset 0
		.amdhsa_user_sgpr_private_segment_size 0
		.amdhsa_wavefront_size32 1
		.amdhsa_uses_dynamic_stack 0
		.amdhsa_enable_private_segment 0
		.amdhsa_system_sgpr_workgroup_id_x 1
		.amdhsa_system_sgpr_workgroup_id_y 0
		.amdhsa_system_sgpr_workgroup_id_z 0
		.amdhsa_system_sgpr_workgroup_info 0
		.amdhsa_system_vgpr_workitem_id 0
		.amdhsa_next_free_vgpr 24
		.amdhsa_next_free_sgpr 83
		.amdhsa_named_barrier_count 0
		.amdhsa_reserve_vcc 1
		.amdhsa_float_round_mode_32 0
		.amdhsa_float_round_mode_16_64 0
		.amdhsa_float_denorm_mode_32 3
		.amdhsa_float_denorm_mode_16_64 3
		.amdhsa_fp16_overflow 0
		.amdhsa_memory_ordered 1
		.amdhsa_forward_progress 1
		.amdhsa_inst_pref_size 27
		.amdhsa_round_robin_scheduling 0
		.amdhsa_exception_fp_ieee_invalid_op 0
		.amdhsa_exception_fp_denorm_src 0
		.amdhsa_exception_fp_ieee_div_zero 0
		.amdhsa_exception_fp_ieee_overflow 0
		.amdhsa_exception_fp_ieee_underflow 0
		.amdhsa_exception_fp_ieee_inexact 0
		.amdhsa_exception_int_div_zero 0
	.end_amdhsa_kernel
	.text
.Lfunc_end70:
	.size	naive_conv_ab_packed_bwd_ncdhw_half_double_half, .Lfunc_end70-naive_conv_ab_packed_bwd_ncdhw_half_double_half
                                        ; -- End function
	.set naive_conv_ab_packed_bwd_ncdhw_half_double_half.num_vgpr, 24
	.set naive_conv_ab_packed_bwd_ncdhw_half_double_half.num_agpr, 0
	.set naive_conv_ab_packed_bwd_ncdhw_half_double_half.numbered_sgpr, 83
	.set naive_conv_ab_packed_bwd_ncdhw_half_double_half.num_named_barrier, 0
	.set naive_conv_ab_packed_bwd_ncdhw_half_double_half.private_seg_size, 0
	.set naive_conv_ab_packed_bwd_ncdhw_half_double_half.uses_vcc, 1
	.set naive_conv_ab_packed_bwd_ncdhw_half_double_half.uses_flat_scratch, 0
	.set naive_conv_ab_packed_bwd_ncdhw_half_double_half.has_dyn_sized_stack, 0
	.set naive_conv_ab_packed_bwd_ncdhw_half_double_half.has_recursion, 0
	.set naive_conv_ab_packed_bwd_ncdhw_half_double_half.has_indirect_call, 0
	.section	.AMDGPU.csdata,"",@progbits
; Kernel info:
; codeLenInByte = 3332
; TotalNumSgprs: 85
; NumVgprs: 24
; ScratchSize: 0
; MemoryBound: 0
; FloatMode: 240
; IeeeMode: 1
; LDSByteSize: 0 bytes/workgroup (compile time only)
; SGPRBlocks: 0
; VGPRBlocks: 1
; NumSGPRsForWavesPerEU: 85
; NumVGPRsForWavesPerEU: 24
; NamedBarCnt: 0
; Occupancy: 16
; WaveLimiterHint : 1
; COMPUTE_PGM_RSRC2:SCRATCH_EN: 0
; COMPUTE_PGM_RSRC2:USER_SGPR: 2
; COMPUTE_PGM_RSRC2:TRAP_HANDLER: 0
; COMPUTE_PGM_RSRC2:TGID_X_EN: 1
; COMPUTE_PGM_RSRC2:TGID_Y_EN: 0
; COMPUTE_PGM_RSRC2:TGID_Z_EN: 0
; COMPUTE_PGM_RSRC2:TIDIG_COMP_CNT: 0
	.text
	.protected	naive_conv_ab_nonpacked_bwd_ncdhw_half_double_half ; -- Begin function naive_conv_ab_nonpacked_bwd_ncdhw_half_double_half
	.globl	naive_conv_ab_nonpacked_bwd_ncdhw_half_double_half
	.p2align	8
	.type	naive_conv_ab_nonpacked_bwd_ncdhw_half_double_half,@function
naive_conv_ab_nonpacked_bwd_ncdhw_half_double_half: ; @naive_conv_ab_nonpacked_bwd_ncdhw_half_double_half
; %bb.0:
	s_load_b512 s[4:19], s[0:1], 0xb8
	s_bfe_u32 s2, ttmp6, 0x4000c
	s_and_b32 s3, ttmp6, 15
	s_add_co_i32 s2, s2, 1
	s_getreg_b32 s20, hwreg(HW_REG_IB_STS2, 6, 4)
	s_mul_i32 s2, ttmp9, s2
	s_mov_b32 s25, exec_lo
	s_add_co_i32 s3, s3, s2
	s_cmp_eq_u32 s20, 0
	s_cselect_b32 s20, ttmp9, s3
	s_wait_kmcnt 0x0
	s_abs_i32 s3, s9
	s_mul_i32 s68, s6, s5
	s_cvt_f32_u32 s2, s3
	s_delay_alu instid0(SALU_CYCLE_3) | instskip(SKIP_1) | instid1(TRANS32_DEP_1)
	v_rcp_iflag_f32_e32 v1, s2
	v_nop
	v_readfirstlane_b32 s2, v1
	s_mul_f32 s2, s2, 0x4f7ffffe
	s_delay_alu instid0(SALU_CYCLE_3) | instskip(SKIP_1) | instid1(SALU_CYCLE_2)
	s_cvt_u32_f32 s21, s2
	s_sub_co_i32 s2, 0, s3
	s_mul_i32 s2, s2, s21
	s_delay_alu instid0(SALU_CYCLE_1) | instskip(SKIP_2) | instid1(SALU_CYCLE_1)
	s_mul_hi_u32 s22, s21, s2
	s_abs_i32 s2, s20
	s_add_co_i32 s21, s21, s22
	s_mul_hi_u32 s21, s2, s21
	s_delay_alu instid0(SALU_CYCLE_1) | instskip(SKIP_2) | instid1(SALU_CYCLE_1)
	s_mul_i32 s22, s21, s3
	s_add_co_i32 s23, s21, 1
	s_sub_co_i32 s22, s2, s22
	s_sub_co_i32 s24, s22, s3
	s_cmp_ge_u32 s22, s3
	s_cselect_b32 s21, s23, s21
	s_cselect_b32 s22, s24, s22
	s_add_co_i32 s23, s21, 1
	s_cmp_ge_u32 s22, s3
	s_mul_i32 s22, s9, s7
	s_cselect_b32 s23, s23, s21
	s_abs_i32 s21, s7
	s_abs_i32 s28, s22
	s_cvt_f32_u32 s3, s21
	s_cvt_f32_u32 s7, s28
	s_delay_alu instid0(SALU_CYCLE_2) | instskip(NEXT) | instid1(SALU_CYCLE_2)
	v_rcp_iflag_f32_e32 v1, s3
	v_rcp_iflag_f32_e32 v2, s7
	s_mul_i32 s7, s68, s4
	s_mov_b32 s3, 0
	s_delay_alu instid0(TRANS32_DEP_2) | instskip(NEXT) | instid1(TRANS32_DEP_1)
	v_readfirstlane_b32 s24, v1
	v_readfirstlane_b32 s4, v2
	v_cmpx_gt_i32_e64 s7, v0
	s_cbranch_execz .LBB71_38
; %bb.1:
	s_mul_f32 s24, s24, 0x4f7ffffe
	s_ashr_i32 s29, s20, 31
	s_ashr_i32 s25, s9, 31
	s_mul_f32 s4, s4, 0x4f7ffffe
	s_cvt_u32_f32 s26, s24
	s_xor_b32 s25, s29, s25
	s_sub_co_i32 s24, 0, s21
	s_xor_b32 s23, s23, s25
	s_mul_i32 s24, s24, s26
	s_cvt_u32_f32 s4, s4
	s_sub_co_i32 s23, s23, s25
	s_mul_hi_u32 s25, s26, s24
	s_sub_co_i32 s30, 0, s28
	s_abs_i32 s24, s23
	s_add_co_i32 s26, s26, s25
	s_mov_b32 s25, s3
	s_mov_b32 s27, s3
	s_mul_i32 s30, s30, s4
	s_mul_u64 s[26:27], s[24:25], s[26:27]
	s_mul_hi_u32 s25, s4, s30
	s_ashr_i32 s26, s22, 31
	s_add_co_i32 s22, s4, s25
	s_mul_i32 s4, s27, s21
	s_ashr_i32 s33, s23, 31
	s_mul_i32 s23, s23, s9
	s_sub_co_i32 s4, s24, s4
	s_sub_co_i32 s70, s20, s23
	;; [unrolled: 1-line block ×3, first 2 shown]
	s_cmp_ge_u32 s4, s21
	s_mov_b32 s23, s3
	s_cselect_b32 s4, s9, s4
	s_mul_u64 s[30:31], s[2:3], s[22:23]
	s_sub_co_i32 s9, s4, s21
	s_cmp_ge_u32 s4, s21
	s_load_b512 s[36:51], s[0:1], 0x28
	s_cselect_b32 s4, s9, s4
	s_load_b128 s[52:55], s[0:1], 0xa8
	s_xor_b32 s4, s4, s33
	s_load_b64 s[82:83], s[0:1], 0x20
	s_sub_co_i32 s34, s4, s33
	s_xor_b32 s33, s29, s26
	s_load_b256 s[20:27], s[0:1], 0x0
	s_mul_i32 s4, s31, s28
	v_mov_b32_e32 v3, 0
	s_sub_co_i32 s2, s2, s4
	s_add_co_i32 s4, s31, 1
	s_sub_co_i32 s9, s2, s28
	s_cmp_ge_u32 s2, s28
	s_load_b32 s84, s[0:1], 0x11c
	s_cselect_b32 s4, s4, s31
	s_cselect_b32 s2, s9, s2
	s_add_co_i32 s9, s4, 1
	s_cmp_ge_u32 s2, s28
	s_load_b128 s[28:31], s[0:1], 0xf8
	s_cselect_b32 s2, s9, s4
	s_load_b32 s9, s[0:1], 0x108
	s_xor_b32 s2, s2, s33
	s_ashr_i32 s35, s34, 31
	s_sub_co_i32 s72, s2, s33
	s_ashr_i32 s71, s70, 31
	s_ashr_i32 s73, s72, 31
	s_wait_kmcnt 0x0
	v_cmp_neq_f64_e64 s2, s[24:25], 1.0
	v_cmp_neq_f64_e64 s69, s[26:27], 0
	s_mul_u64 s[46:47], s[46:47], s[34:35]
	s_mul_u64 s[44:45], s[44:45], s[72:73]
	;; [unrolled: 1-line block ×5, first 2 shown]
	s_lshl_b64 s[46:47], s[46:47], 1
	s_lshl_b64 s[44:45], s[44:45], 1
	;; [unrolled: 1-line block ×5, first 2 shown]
	s_cmp_gt_i32 s8, 0
	s_load_b512 s[52:67], s[0:1], 0x68
	s_cselect_b32 s33, -1, 0
	s_cmp_gt_i32 s30, 0
	s_cselect_b32 s74, -1, 0
	s_cmp_gt_i32 s31, 0
	;; [unrolled: 2-line block ×3, first 2 shown]
	s_cselect_b32 s76, -1, 0
	s_abs_i32 s77, s6
	s_abs_i32 s78, s5
	s_cvt_f32_u32 s4, s77
	s_cvt_f32_u32 s79, s78
	s_abs_i32 s86, s15
	s_ashr_i32 s85, s68, 31
	v_rcp_iflag_f32_e32 v1, s4
	s_add_nc_u64 s[4:5], s[20:21], s[46:47]
	v_rcp_iflag_f32_e32 v2, s79
	s_add_nc_u64 s[20:21], s[82:83], s[34:35]
	s_wait_xcnt 0x0
	s_add_nc_u64 s[0:1], s[4:5], s[44:45]
	s_add_nc_u64 s[20:21], s[20:21], s[80:81]
	s_abs_i32 s80, s68
	v_readfirstlane_b32 s44, v1
	s_or_b32 s79, s2, s69
	s_cvt_f32_u32 s2, s80
	s_add_nc_u64 s[4:5], s[0:1], s[42:43]
	v_readfirstlane_b32 s1, v2
	s_mul_f32 s0, s44, 0x4f7ffffe
	v_rcp_iflag_f32_e32 v1, s2
	s_abs_i32 s83, s13
	s_sub_co_i32 s34, 0, s77
	s_cvt_u32_f32 s0, s0
	s_mul_f32 s1, s1, 0x4f7ffffe
	s_cvt_f32_u32 s42, s83
	s_and_b32 s81, s84, 0xffff
	v_nop
	v_readfirstlane_b32 s35, v1
	s_mul_i32 s34, s34, s0
	s_cvt_u32_f32 s1, s1
	s_mul_hi_u32 s2, s0, s34
	s_sub_co_i32 s34, 0, s78
	v_rcp_iflag_f32_e32 v1, s42
	s_mul_i32 s43, s34, s1
	s_add_co_i32 s34, s0, s2
	s_mul_f32 s2, s35, 0x4f7ffffe
	s_mul_hi_u32 s0, s1, s43
	s_abs_i32 s84, s14
	s_add_co_i32 s42, s1, s0
	s_cvt_u32_f32 s0, s2
	s_cvt_f32_u32 s2, s84
	v_nop
	v_readfirstlane_b32 s1, v1
	s_sub_co_i32 s44, 0, s80
	s_cvt_f32_u32 s45, s86
	v_rcp_iflag_f32_e32 v1, s2
	s_mul_i32 s44, s44, s0
	s_mul_f32 s1, s1, 0x4f7ffffe
	s_mul_hi_u32 s2, s0, s44
	s_ashr_i32 s87, s14, 31
	s_add_co_i32 s44, s0, s2
	s_cvt_u32_f32 s0, s1
	v_nop
	v_readfirstlane_b32 s1, v1
	v_rcp_iflag_f32_e32 v1, s45
	s_sub_co_i32 s2, 0, s83
	s_ashr_i32 s88, s15, 31
	s_mul_i32 s2, s2, s0
	s_mul_f32 s1, s1, 0x4f7ffffe
	s_mul_hi_u32 s2, s0, s2
	s_wait_kmcnt 0x0
	s_mul_u64 s[14:15], s[58:59], s[72:73]
	v_nop
	v_readfirstlane_b32 s68, v1
	s_add_co_i32 s46, s0, s2
	s_cvt_u32_f32 s0, s1
	s_sub_co_i32 s1, 0, s84
	v_mov_b32_e32 v1, 0x7e00
	s_mul_f32 s2, s68, 0x4f7ffffe
	s_mul_i32 s1, s1, s0
	s_ashr_i32 s82, s6, 31
	s_mul_hi_u32 s1, s0, s1
	s_cvt_u32_f32 s2, s2
	s_add_co_i32 s68, s0, s1
	s_sub_co_i32 s0, 0, s86
	s_mov_b32 s35, s3
	s_mul_i32 s0, s0, s2
	s_mov_b32 s43, s3
	s_mul_hi_u32 s89, s2, s0
	s_mul_u64 s[0:1], s[54:55], s[70:71]
	s_lshl_b64 s[54:55], s[14:15], 1
	s_lshl_b64 s[0:1], s[0:1], 1
	s_mov_b32 s45, s3
	s_add_nc_u64 s[0:1], s[0:1], s[54:55]
	s_ashr_i32 s13, s13, 31
	s_mov_b32 s47, s3
	s_mov_b32 s69, s3
	s_add_co_i32 s14, s2, s89
	s_mov_b32 s15, s3
	s_add_nc_u64 s[22:23], s[22:23], s[0:1]
	s_lshl_b64 s[54:55], s[56:57], 1
	s_lshl_b64 s[52:53], s[52:53], 1
	s_mov_b32 s89, 0
	s_lshl_b64 s[50:51], s[50:51], 1
	s_lshl_b64 s[48:49], s[48:49], 1
	s_branch .LBB71_3
.LBB71_2:                               ;   in Loop: Header=BB71_3 Depth=1
	v_add_nc_u32_e32 v0, s81, v0
	s_delay_alu instid0(VALU_DEP_1)
	v_cmp_le_i32_e32 vcc_lo, s7, v0
	s_or_b32 s89, vcc_lo, s89
	s_wait_xcnt 0x0
	s_and_not1_b32 exec_lo, exec_lo, s89
	s_cbranch_execz .LBB71_38
.LBB71_3:                               ; =>This Loop Header: Depth=1
                                        ;     Child Loop BB71_6 Depth 2
                                        ;       Child Loop BB71_9 Depth 3
                                        ;         Child Loop BB71_18 Depth 4
                                        ;           Child Loop BB71_25 Depth 5
	v_dual_sub_nc_u32 v2, 0, v0 :: v_dual_ashrrev_i32 v10, 31, v0
	s_delay_alu instid0(VALU_DEP_1) | instskip(NEXT) | instid1(VALU_DEP_1)
	v_max_i32_e32 v2, v0, v2
	v_mul_u64_e32 v[4:5], s[34:35], v[2:3]
	v_mul_u64_e32 v[8:9], s[44:45], v[2:3]
	s_delay_alu instid0(VALU_DEP_2) | instskip(NEXT) | instid1(VALU_DEP_1)
	v_mul_lo_u32 v4, v5, s77
	v_dual_add_nc_u32 v6, 1, v5 :: v_dual_sub_nc_u32 v4, v2, v4
	s_delay_alu instid0(VALU_DEP_1) | instskip(NEXT) | instid1(VALU_DEP_2)
	v_cmp_le_u32_e32 vcc_lo, s77, v4
	v_cndmask_b32_e32 v5, v5, v6, vcc_lo
	v_subrev_nc_u32_e32 v7, s77, v4
	s_delay_alu instid0(VALU_DEP_1) | instskip(SKIP_1) | instid1(VALU_DEP_2)
	v_dual_add_nc_u32 v6, 1, v5 :: v_dual_cndmask_b32 v4, v4, v7, vcc_lo
	v_xor_b32_e32 v7, s82, v10
	v_cmp_le_u32_e32 vcc_lo, s77, v4
	s_delay_alu instid0(VALU_DEP_3) | instskip(NEXT) | instid1(VALU_DEP_1)
	v_dual_cndmask_b32 v4, v5, v6 :: v_dual_mov_b32 v5, v3
	v_xor_b32_e32 v4, v4, v7
	s_delay_alu instid0(VALU_DEP_1) | instskip(NEXT) | instid1(VALU_DEP_1)
	v_sub_nc_u32_e32 v11, v4, v7
	v_sub_nc_u32_e32 v4, 0, v11
	s_delay_alu instid0(VALU_DEP_1) | instskip(NEXT) | instid1(VALU_DEP_1)
	v_max_i32_e32 v4, v11, v4
	v_mul_u64_e32 v[6:7], s[42:43], v[4:5]
	v_mul_lo_u32 v6, v9, s80
	s_delay_alu instid0(VALU_DEP_1) | instskip(NEXT) | instid1(VALU_DEP_1)
	v_dual_sub_nc_u32 v2, v2, v6 :: v_dual_add_nc_u32 v6, 1, v9
	v_cmp_le_u32_e32 vcc_lo, s80, v2
	s_delay_alu instid0(VALU_DEP_4) | instskip(SKIP_1) | instid1(VALU_DEP_1)
	v_mul_lo_u32 v5, v7, s78
	v_subrev_nc_u32_e32 v7, s80, v2
	v_dual_cndmask_b32 v2, v2, v7, vcc_lo :: v_dual_bitop2_b32 v8, s85, v10 bitop3:0x14
	s_delay_alu instid0(VALU_DEP_3) | instskip(NEXT) | instid1(VALU_DEP_1)
	v_dual_sub_nc_u32 v4, v4, v5 :: v_dual_ashrrev_i32 v10, 31, v11
	v_subrev_nc_u32_e32 v5, s78, v4
	v_cmp_le_u32_e64 s0, s78, v4
	s_delay_alu instid0(VALU_DEP_1) | instskip(SKIP_1) | instid1(VALU_DEP_2)
	v_dual_cndmask_b32 v4, v4, v5, s0 :: v_dual_cndmask_b32 v5, v9, v6, vcc_lo
	v_mul_lo_u32 v9, v11, s6
	v_subrev_nc_u32_e32 v6, s78, v4
	v_cmp_le_u32_e32 vcc_lo, s78, v4
	s_delay_alu instid0(VALU_DEP_2) | instskip(SKIP_1) | instid1(VALU_DEP_2)
	v_dual_cndmask_b32 v4, v4, v6 :: v_dual_add_nc_u32 v7, 1, v5
	v_cmp_le_u32_e32 vcc_lo, s80, v2
	v_dual_sub_nc_u32 v6, v0, v9 :: v_dual_cndmask_b32 v2, v5, v7, vcc_lo
	s_and_not1_b32 vcc_lo, exec_lo, s33
	s_delay_alu instid0(VALU_DEP_1) | instskip(NEXT) | instid1(VALU_DEP_1)
	v_xor_b32_e32 v2, v2, v8
	v_dual_sub_nc_u32 v14, v2, v8 :: v_dual_bitop2_b32 v4, v4, v10 bitop3:0x14
	s_delay_alu instid0(VALU_DEP_1)
	v_sub_nc_u32_e32 v15, v4, v10
	s_cbranch_vccnz .LBB71_33
; %bb.4:                                ;   in Loop: Header=BB71_3 Depth=1
	v_mov_b64_e32 v[4:5], 0
	s_delay_alu instid0(VALU_DEP_2)
	v_dual_add_nc_u32 v7, s19, v14 :: v_dual_add_nc_u32 v16, s28, v15
	v_add_nc_u32_e32 v17, s29, v6
	s_mov_b32 s2, 0
	s_mov_b64 s[0:1], s[22:23]
	s_branch .LBB71_6
.LBB71_5:                               ;   in Loop: Header=BB71_6 Depth=2
	s_add_co_i32 s2, s2, 1
	s_add_nc_u64 s[0:1], s[0:1], s[54:55]
	s_cmp_eq_u32 s2, s8
	s_cbranch_scc1 .LBB71_34
.LBB71_6:                               ;   Parent Loop BB71_3 Depth=1
                                        ; =>  This Loop Header: Depth=2
                                        ;       Child Loop BB71_9 Depth 3
                                        ;         Child Loop BB71_18 Depth 4
                                        ;           Child Loop BB71_25 Depth 5
	s_and_not1_b32 vcc_lo, exec_lo, s74
	s_cbranch_vccnz .LBB71_5
; %bb.7:                                ;   in Loop: Header=BB71_6 Depth=2
	s_mul_u64 s[56:57], s[66:67], s[2:3]
	s_mov_b32 s90, 0
	s_lshl_b64 s[56:57], s[56:57], 1
	s_mov_b64 s[58:59], s[0:1]
	s_add_nc_u64 s[56:57], s[20:21], s[56:57]
	s_branch .LBB71_9
.LBB71_8:                               ;   in Loop: Header=BB71_9 Depth=3
	s_add_co_i32 s90, s90, 1
	s_add_nc_u64 s[58:59], s[58:59], s[52:53]
	s_cmp_eq_u32 s90, s30
	s_cbranch_scc1 .LBB71_5
.LBB71_9:                               ;   Parent Loop BB71_3 Depth=1
                                        ;     Parent Loop BB71_6 Depth=2
                                        ; =>    This Loop Header: Depth=3
                                        ;         Child Loop BB71_18 Depth 4
                                        ;           Child Loop BB71_25 Depth 5
	s_mul_i32 s70, s16, s90
	s_mov_b32 s71, exec_lo
	v_subrev_nc_u32_e32 v12, s70, v7
	s_mov_b32 s70, 0
                                        ; implicit-def: $vgpr9
                                        ; implicit-def: $vgpr8
                                        ; implicit-def: $vgpr11
	s_delay_alu instid0(VALU_DEP_1) | instskip(NEXT) | instid1(VALU_DEP_1)
	v_dual_sub_nc_u32 v2, 0, v12 :: v_dual_ashrrev_i32 v10, 31, v12
	v_max_i32_e32 v2, v12, v2
	v_cmpx_lt_i32_e32 -1, v12
	s_xor_b32 s71, exec_lo, s71
	s_cbranch_execnz .LBB71_13
; %bb.10:                               ;   in Loop: Header=BB71_9 Depth=3
	s_and_not1_saveexec_b32 s71, s71
	s_cbranch_execnz .LBB71_14
.LBB71_11:                              ;   in Loop: Header=BB71_9 Depth=3
	s_or_b32 exec_lo, exec_lo, s71
	v_mov_b32_e32 v2, 1
	s_and_saveexec_b32 s71, s70
	s_cbranch_execnz .LBB71_15
.LBB71_12:                              ;   in Loop: Header=BB71_9 Depth=3
	s_or_b32 exec_lo, exec_lo, s71
	s_delay_alu instid0(SALU_CYCLE_1)
	s_and_not1_b32 vcc_lo, exec_lo, s75
	s_cbranch_vccz .LBB71_16
	s_branch .LBB71_8
.LBB71_13:                              ;   in Loop: Header=BB71_9 Depth=3
	s_delay_alu instid0(VALU_DEP_2) | instskip(SKIP_1) | instid1(VALU_DEP_2)
	v_mul_u64_e32 v[8:9], s[46:47], v[2:3]
	v_ashrrev_i32_e32 v10, 31, v12
	v_mul_lo_u32 v8, v9, s83
	s_delay_alu instid0(VALU_DEP_1) | instskip(NEXT) | instid1(VALU_DEP_1)
	v_sub_nc_u32_e32 v8, v2, v8
	v_subrev_nc_u32_e32 v11, s83, v8
	v_cmp_le_u32_e32 vcc_lo, s83, v8
	s_delay_alu instid0(VALU_DEP_2) | instskip(NEXT) | instid1(VALU_DEP_1)
	v_cndmask_b32_e32 v2, v8, v11, vcc_lo
	v_subrev_nc_u32_e32 v13, s83, v2
	v_cmp_le_u32_e32 vcc_lo, s83, v2
	s_delay_alu instid0(VALU_DEP_2) | instskip(NEXT) | instid1(VALU_DEP_1)
	v_cndmask_b32_e32 v2, v2, v13, vcc_lo
	v_xor_b32_e32 v2, v2, v10
	s_delay_alu instid0(VALU_DEP_1) | instskip(NEXT) | instid1(VALU_DEP_1)
	v_sub_nc_u32_e32 v2, v2, v10
	v_cmp_ne_u32_e32 vcc_lo, 0, v2
	s_and_b32 s70, vcc_lo, exec_lo
	s_and_not1_saveexec_b32 s71, s71
	s_cbranch_execz .LBB71_11
.LBB71_14:                              ;   in Loop: Header=BB71_9 Depth=3
	v_mul_u64_e32 v[8:9], s[46:47], v[2:3]
	s_or_b32 s70, s70, exec_lo
	s_delay_alu instid0(VALU_DEP_1) | instskip(NEXT) | instid1(VALU_DEP_1)
	v_mul_lo_u32 v8, v9, s83
	v_sub_nc_u32_e32 v8, v2, v8
	s_delay_alu instid0(VALU_DEP_1)
	v_subrev_nc_u32_e32 v11, s83, v8
	s_or_b32 exec_lo, exec_lo, s71
	v_mov_b32_e32 v2, 1
	s_and_saveexec_b32 s71, s70
	s_cbranch_execz .LBB71_12
.LBB71_15:                              ;   in Loop: Header=BB71_9 Depth=3
	v_mov_b32_e32 v2, 0
	s_or_b32 exec_lo, exec_lo, s71
	s_delay_alu instid0(SALU_CYCLE_1)
	s_and_not1_b32 vcc_lo, exec_lo, s75
	s_cbranch_vccnz .LBB71_8
.LBB71_16:                              ;   in Loop: Header=BB71_9 Depth=3
	v_cmp_le_u32_e32 vcc_lo, s83, v8
	v_add_nc_u32_e32 v12, 1, v9
	s_mov_b32 s91, 0
	s_mov_b64 s[70:71], s[58:59]
	v_dual_cndmask_b32 v8, v8, v11, vcc_lo :: v_dual_bitop2_b32 v10, s13, v10 bitop3:0x14
	s_delay_alu instid0(VALU_DEP_2) | instskip(NEXT) | instid1(VALU_DEP_2)
	v_cndmask_b32_e32 v9, v9, v12, vcc_lo
	v_cmp_le_u32_e32 vcc_lo, s83, v8
	s_delay_alu instid0(VALU_DEP_2) | instskip(NEXT) | instid1(VALU_DEP_1)
	v_add_nc_u32_e32 v11, 1, v9
	v_cndmask_b32_e32 v8, v9, v11, vcc_lo
	s_delay_alu instid0(VALU_DEP_1) | instskip(NEXT) | instid1(VALU_DEP_1)
	v_xor_b32_e32 v8, v8, v10
	v_sub_nc_u32_e32 v8, v8, v10
	s_delay_alu instid0(VALU_DEP_1) | instskip(SKIP_1) | instid1(VALU_DEP_2)
	v_ashrrev_i32_e32 v9, 31, v8
	v_cmp_gt_i32_e32 vcc_lo, s10, v8
	v_mul_u64_e32 v[10:11], s[64:65], v[8:9]
	v_cndmask_b32_e32 v18, 0, v2, vcc_lo
	s_delay_alu instid0(VALU_DEP_2)
	v_lshl_add_u64 v[8:9], v[10:11], 1, s[56:57]
	s_branch .LBB71_18
.LBB71_17:                              ;   in Loop: Header=BB71_18 Depth=4
	s_add_co_i32 s91, s91, 1
	s_add_nc_u64 s[70:71], s[70:71], s[50:51]
	s_cmp_eq_u32 s91, s31
	s_cbranch_scc1 .LBB71_8
.LBB71_18:                              ;   Parent Loop BB71_3 Depth=1
                                        ;     Parent Loop BB71_6 Depth=2
                                        ;       Parent Loop BB71_9 Depth=3
                                        ; =>      This Loop Header: Depth=4
                                        ;           Child Loop BB71_25 Depth 5
	s_mul_i32 s72, s17, s91
	s_delay_alu instid0(SALU_CYCLE_1) | instskip(NEXT) | instid1(VALU_DEP_1)
	v_subrev_nc_u32_e32 v2, s72, v16
	v_dual_sub_nc_u32 v11, 0, v2 :: v_dual_ashrrev_i32 v10, 31, v2
	v_cmp_gt_i32_e64 s72, 0, v2
	v_cmp_lt_i32_e32 vcc_lo, -1, v2
	s_delay_alu instid0(VALU_DEP_3)
	v_max_i32_e32 v2, v2, v11
	s_and_saveexec_b32 s73, vcc_lo
	s_cbranch_execnz .LBB71_21
; %bb.19:                               ;   in Loop: Header=BB71_18 Depth=4
	s_or_b32 exec_lo, exec_lo, s73
	v_mov_b32_e32 v11, 1
	s_and_saveexec_b32 s73, s72
	s_cbranch_execnz .LBB71_22
.LBB71_20:                              ;   in Loop: Header=BB71_18 Depth=4
	s_or_b32 exec_lo, exec_lo, s73
	s_delay_alu instid0(SALU_CYCLE_1)
	s_and_not1_b32 vcc_lo, exec_lo, s76
	s_cbranch_vccz .LBB71_23
	s_branch .LBB71_17
.LBB71_21:                              ;   in Loop: Header=BB71_18 Depth=4
	s_delay_alu instid0(VALU_DEP_1) | instskip(SKIP_1) | instid1(VALU_DEP_1)
	v_mul_u64_e32 v[12:13], s[68:69], v[2:3]
	s_and_not1_b32 s72, s72, exec_lo
	v_mul_lo_u32 v11, v13, s84
	s_delay_alu instid0(VALU_DEP_1) | instskip(NEXT) | instid1(VALU_DEP_1)
	v_sub_nc_u32_e32 v11, v2, v11
	v_subrev_nc_u32_e32 v12, s84, v11
	v_cmp_le_u32_e32 vcc_lo, s84, v11
	s_delay_alu instid0(VALU_DEP_2) | instskip(NEXT) | instid1(VALU_DEP_1)
	v_cndmask_b32_e32 v11, v11, v12, vcc_lo
	v_subrev_nc_u32_e32 v12, s84, v11
	v_cmp_le_u32_e32 vcc_lo, s84, v11
	s_delay_alu instid0(VALU_DEP_2) | instskip(NEXT) | instid1(VALU_DEP_1)
	v_cndmask_b32_e32 v11, v11, v12, vcc_lo
	v_xor_b32_e32 v11, v11, v10
	s_delay_alu instid0(VALU_DEP_1) | instskip(NEXT) | instid1(VALU_DEP_1)
	v_sub_nc_u32_e32 v11, v11, v10
	v_cmp_ne_u32_e32 vcc_lo, 0, v11
	s_and_b32 s92, vcc_lo, exec_lo
	s_delay_alu instid0(SALU_CYCLE_1)
	s_or_b32 s72, s72, s92
	s_or_b32 exec_lo, exec_lo, s73
	v_mov_b32_e32 v11, 1
	s_and_saveexec_b32 s73, s72
	s_cbranch_execz .LBB71_20
.LBB71_22:                              ;   in Loop: Header=BB71_18 Depth=4
	v_mov_b32_e32 v11, 0
	s_or_b32 exec_lo, exec_lo, s73
	s_delay_alu instid0(SALU_CYCLE_1)
	s_and_not1_b32 vcc_lo, exec_lo, s76
	s_cbranch_vccnz .LBB71_17
.LBB71_23:                              ;   in Loop: Header=BB71_18 Depth=4
	v_mul_u64_e32 v[12:13], s[68:69], v[2:3]
	s_mov_b64 s[72:73], s[70:71]
	s_mov_b32 s92, s9
	v_xor_b32_e32 v10, s87, v10
	s_delay_alu instid0(VALU_DEP_2) | instskip(NEXT) | instid1(VALU_DEP_1)
	v_mul_lo_u32 v12, v13, s84
	v_dual_sub_nc_u32 v2, v2, v12 :: v_dual_add_nc_u32 v12, 1, v13
	s_delay_alu instid0(VALU_DEP_1) | instskip(SKIP_1) | instid1(VALU_DEP_2)
	v_subrev_nc_u32_e32 v19, s84, v2
	v_cmp_le_u32_e32 vcc_lo, s84, v2
	v_dual_cndmask_b32 v12, v13, v12, vcc_lo :: v_dual_cndmask_b32 v2, v2, v19, vcc_lo
	s_delay_alu instid0(VALU_DEP_1) | instskip(NEXT) | instid1(VALU_DEP_2)
	v_add_nc_u32_e32 v13, 1, v12
	v_cmp_le_u32_e32 vcc_lo, s84, v2
	s_delay_alu instid0(VALU_DEP_2) | instskip(NEXT) | instid1(VALU_DEP_1)
	v_cndmask_b32_e32 v2, v12, v13, vcc_lo
	v_xor_b32_e32 v2, v2, v10
	s_delay_alu instid0(VALU_DEP_1) | instskip(NEXT) | instid1(VALU_DEP_1)
	v_sub_nc_u32_e32 v12, v2, v10
	v_cmp_gt_i32_e32 vcc_lo, s11, v12
	v_dual_cndmask_b32 v2, 0, v11 :: v_dual_ashrrev_i32 v13, 31, v12
	s_delay_alu instid0(VALU_DEP_1) | instskip(NEXT) | instid1(VALU_DEP_2)
	v_and_b32_e32 v19, v2, v18
	v_mul_u64_e32 v[20:21], s[62:63], v[12:13]
	s_delay_alu instid0(VALU_DEP_1)
	v_lshl_add_u64 v[10:11], v[20:21], 1, v[8:9]
	v_mov_b32_e32 v20, v17
	s_branch .LBB71_25
.LBB71_24:                              ;   in Loop: Header=BB71_25 Depth=5
	s_wait_xcnt 0x0
	s_or_b32 exec_lo, exec_lo, s93
	v_subrev_nc_u32_e32 v20, s18, v20
	s_add_co_i32 s92, s92, -1
	s_add_nc_u64 s[72:73], s[72:73], s[48:49]
	s_cmp_eq_u32 s92, 0
	s_cbranch_scc1 .LBB71_17
.LBB71_25:                              ;   Parent Loop BB71_3 Depth=1
                                        ;     Parent Loop BB71_6 Depth=2
                                        ;       Parent Loop BB71_9 Depth=3
                                        ;         Parent Loop BB71_18 Depth=4
                                        ; =>        This Inner Loop Header: Depth=5
	s_delay_alu instid0(VALU_DEP_1) | instskip(SKIP_2) | instid1(VALU_DEP_1)
	v_dual_sub_nc_u32 v2, 0, v20 :: v_dual_ashrrev_i32 v21, 31, v20
	s_mov_b32 s93, 0
	s_mov_b32 s94, exec_lo
                                        ; implicit-def: $vgpr13
                                        ; implicit-def: $vgpr12
                                        ; implicit-def: $vgpr22
	v_max_i32_e32 v2, v20, v2
	v_cmpx_lt_i32_e32 -1, v20
	s_xor_b32 s94, exec_lo, s94
	s_cbranch_execnz .LBB71_31
; %bb.26:                               ;   in Loop: Header=BB71_25 Depth=5
	s_and_not1_saveexec_b32 s94, s94
	s_cbranch_execnz .LBB71_32
.LBB71_27:                              ;   in Loop: Header=BB71_25 Depth=5
	s_or_b32 exec_lo, exec_lo, s94
	v_mov_b32_e32 v2, 1
	s_and_saveexec_b32 s94, s93
.LBB71_28:                              ;   in Loop: Header=BB71_25 Depth=5
	v_mov_b32_e32 v2, 0
.LBB71_29:                              ;   in Loop: Header=BB71_25 Depth=5
	s_or_b32 exec_lo, exec_lo, s94
	v_cmp_le_u32_e32 vcc_lo, s86, v12
	v_add_nc_u32_e32 v23, 1, v13
	s_mov_b32 s93, exec_lo
	v_dual_cndmask_b32 v12, v12, v22, vcc_lo :: v_dual_bitop2_b32 v21, s88, v21 bitop3:0x14
	s_delay_alu instid0(VALU_DEP_2) | instskip(NEXT) | instid1(VALU_DEP_2)
	v_cndmask_b32_e32 v13, v13, v23, vcc_lo
	v_cmp_le_u32_e32 vcc_lo, s86, v12
	s_delay_alu instid0(VALU_DEP_2) | instskip(NEXT) | instid1(VALU_DEP_1)
	v_add_nc_u32_e32 v22, 1, v13
	v_cndmask_b32_e32 v12, v13, v22, vcc_lo
	s_delay_alu instid0(VALU_DEP_1) | instskip(NEXT) | instid1(VALU_DEP_1)
	v_xor_b32_e32 v12, v12, v21
	v_sub_nc_u32_e32 v12, v12, v21
	s_delay_alu instid0(VALU_DEP_1) | instskip(SKIP_1) | instid1(VALU_DEP_1)
	v_cmp_gt_i32_e32 vcc_lo, s12, v12
	v_cndmask_b32_e32 v2, 0, v2, vcc_lo
	v_and_b32_e32 v2, v19, v2
	s_delay_alu instid0(VALU_DEP_1) | instskip(NEXT) | instid1(VALU_DEP_1)
	v_and_b32_e32 v2, 1, v2
	v_cmpx_eq_u32_e32 1, v2
	s_cbranch_execz .LBB71_24
; %bb.30:                               ;   in Loop: Header=BB71_25 Depth=5
	v_ashrrev_i32_e32 v13, 31, v12
	s_delay_alu instid0(VALU_DEP_1) | instskip(NEXT) | instid1(VALU_DEP_1)
	v_mul_u64_e32 v[12:13], s[60:61], v[12:13]
	v_lshl_add_u64 v[12:13], v[12:13], 1, v[10:11]
	global_load_u16 v2, v[12:13], off
	global_load_u16 v12, v3, s[72:73]
	s_wait_loadcnt 0x1
	v_cvt_f32_f16_e32 v2, v2
	s_wait_loadcnt 0x0
	v_cvt_f32_f16_e32 v21, v12
	s_delay_alu instid0(VALU_DEP_2) | instskip(NEXT) | instid1(VALU_DEP_2)
	v_cvt_f64_f32_e32 v[12:13], v2
	v_cvt_f64_f32_e32 v[22:23], v21
	s_delay_alu instid0(VALU_DEP_1)
	v_fmac_f64_e32 v[4:5], v[12:13], v[22:23]
	s_branch .LBB71_24
.LBB71_31:                              ;   in Loop: Header=BB71_25 Depth=5
	s_delay_alu instid0(VALU_DEP_2) | instskip(SKIP_1) | instid1(VALU_DEP_2)
	v_mul_u64_e32 v[12:13], s[14:15], v[2:3]
	v_ashrrev_i32_e32 v21, 31, v20
	v_mul_lo_u32 v12, v13, s86
	s_delay_alu instid0(VALU_DEP_1) | instskip(NEXT) | instid1(VALU_DEP_1)
	v_sub_nc_u32_e32 v12, v2, v12
	v_subrev_nc_u32_e32 v22, s86, v12
	v_cmp_le_u32_e32 vcc_lo, s86, v12
	s_delay_alu instid0(VALU_DEP_2) | instskip(NEXT) | instid1(VALU_DEP_1)
	v_cndmask_b32_e32 v2, v12, v22, vcc_lo
	v_subrev_nc_u32_e32 v23, s86, v2
	v_cmp_le_u32_e32 vcc_lo, s86, v2
	s_delay_alu instid0(VALU_DEP_2) | instskip(NEXT) | instid1(VALU_DEP_1)
	v_cndmask_b32_e32 v2, v2, v23, vcc_lo
	v_xor_b32_e32 v2, v2, v21
	s_delay_alu instid0(VALU_DEP_1) | instskip(NEXT) | instid1(VALU_DEP_1)
	v_sub_nc_u32_e32 v2, v2, v21
	v_cmp_ne_u32_e32 vcc_lo, 0, v2
	s_and_b32 s93, vcc_lo, exec_lo
	s_and_not1_saveexec_b32 s94, s94
	s_cbranch_execz .LBB71_27
.LBB71_32:                              ;   in Loop: Header=BB71_25 Depth=5
	v_mul_u64_e32 v[12:13], s[14:15], v[2:3]
	s_or_b32 s93, s93, exec_lo
	s_delay_alu instid0(VALU_DEP_1) | instskip(NEXT) | instid1(VALU_DEP_1)
	v_mul_lo_u32 v12, v13, s86
	v_sub_nc_u32_e32 v12, v2, v12
	s_delay_alu instid0(VALU_DEP_1)
	v_subrev_nc_u32_e32 v22, s86, v12
	s_or_b32 exec_lo, exec_lo, s94
	v_mov_b32_e32 v2, 1
	s_and_saveexec_b32 s94, s93
	s_cbranch_execnz .LBB71_28
	s_branch .LBB71_29
.LBB71_33:                              ;   in Loop: Header=BB71_3 Depth=1
	v_mov_b64_e32 v[4:5], 0
.LBB71_34:                              ;   in Loop: Header=BB71_3 Depth=1
	v_ashrrev_i32_e32 v7, 31, v6
	s_and_b32 vcc_lo, exec_lo, s79
	s_mov_b32 s0, -1
	s_delay_alu instid0(VALU_DEP_1) | instskip(NEXT) | instid1(VALU_DEP_1)
	v_mul_u64_e32 v[6:7], s[36:37], v[6:7]
	v_mad_nc_u64_u32 v[6:7], s38, v15, v[6:7]
	s_delay_alu instid0(VALU_DEP_1) | instskip(SKIP_1) | instid1(VALU_DEP_1)
	v_mad_u32 v2, s39, v15, v7
	v_ashrrev_i32_e32 v7, 31, v15
	v_mad_u32 v7, s38, v7, v2
	s_delay_alu instid0(VALU_DEP_1) | instskip(NEXT) | instid1(VALU_DEP_1)
	v_mad_nc_u64_u32 v[6:7], s40, v14, v[6:7]
	v_mad_u32 v2, s41, v14, v7
	v_ashrrev_i32_e32 v7, 31, v14
	s_delay_alu instid0(VALU_DEP_1) | instskip(NEXT) | instid1(VALU_DEP_1)
	v_mad_u32 v7, s40, v7, v2
	v_lshl_add_u64 v[6:7], v[6:7], 1, s[4:5]
	s_cbranch_vccz .LBB71_36
; %bb.35:                               ;   in Loop: Header=BB71_3 Depth=1
	global_load_u16 v2, v[6:7], off
	s_mov_b32 s0, 0
	s_wait_loadcnt 0x0
	v_cvt_f32_f16_e32 v2, v2
	s_delay_alu instid0(VALU_DEP_1) | instskip(NEXT) | instid1(VALU_DEP_1)
	v_cvt_f64_f32_e32 v[8:9], v2
	v_mul_f64_e32 v[8:9], s[26:27], v[8:9]
	s_delay_alu instid0(VALU_DEP_1) | instskip(NEXT) | instid1(VALU_DEP_1)
	v_fmac_f64_e32 v[8:9], s[24:25], v[4:5]
	v_and_or_b32 v2, 0x1ff, v9, v8
	v_lshrrev_b32_e32 v8, 8, v9
	v_bfe_u32 v10, v9, 20, 11
	s_delay_alu instid0(VALU_DEP_3) | instskip(NEXT) | instid1(VALU_DEP_2)
	v_cmp_ne_u32_e32 vcc_lo, 0, v2
	v_sub_nc_u32_e32 v11, 0x3f1, v10
	v_add_nc_u32_e32 v10, 0xfffffc10, v10
	v_cndmask_b32_e64 v2, 0, 1, vcc_lo
	s_delay_alu instid0(VALU_DEP_1) | instskip(NEXT) | instid1(VALU_DEP_4)
	v_and_or_b32 v2, 0xffe, v8, v2
	v_med3_i32 v8, v11, 0, 13
	s_delay_alu instid0(VALU_DEP_2) | instskip(NEXT) | instid1(VALU_DEP_1)
	v_or_b32_e32 v11, 0x1000, v2
	v_lshrrev_b32_e32 v12, v8, v11
	s_delay_alu instid0(VALU_DEP_1) | instskip(NEXT) | instid1(VALU_DEP_1)
	v_lshlrev_b32_e32 v8, v8, v12
	v_cmp_ne_u32_e32 vcc_lo, v8, v11
	v_lshl_or_b32 v11, v10, 12, v2
	v_cndmask_b32_e64 v8, 0, 1, vcc_lo
	v_cmp_gt_i32_e32 vcc_lo, 1, v10
	s_delay_alu instid0(VALU_DEP_2) | instskip(NEXT) | instid1(VALU_DEP_1)
	v_or_b32_e32 v8, v12, v8
	v_cndmask_b32_e32 v8, v11, v8, vcc_lo
	s_delay_alu instid0(VALU_DEP_1) | instskip(NEXT) | instid1(VALU_DEP_1)
	v_dual_lshrrev_b32 v8, 2, v8 :: v_dual_bitop2_b32 v11, 7, v8 bitop3:0x40
	v_cmp_lt_i32_e32 vcc_lo, 5, v11
	v_cndmask_b32_e64 v12, 0, 1, vcc_lo
	v_cmp_eq_u32_e32 vcc_lo, 3, v11
	v_cndmask_b32_e64 v11, 0, 1, vcc_lo
	v_cmp_ne_u32_e32 vcc_lo, 0, v2
	s_delay_alu instid0(VALU_DEP_2) | instskip(SKIP_2) | instid1(VALU_DEP_3)
	v_or_b32_e32 v11, v11, v12
	v_cndmask_b32_e32 v2, 0x7c00, v1, vcc_lo
	v_cmp_gt_i32_e32 vcc_lo, 31, v10
	v_add_nc_u32_e32 v8, v8, v11
	s_delay_alu instid0(VALU_DEP_1) | instskip(SKIP_1) | instid1(VALU_DEP_2)
	v_cndmask_b32_e32 v8, 0x7c00, v8, vcc_lo
	v_cmp_eq_u32_e32 vcc_lo, 0x40f, v10
	v_dual_cndmask_b32 v2, v8, v2, vcc_lo :: v_dual_lshrrev_b32 v8, 16, v9
	s_delay_alu instid0(VALU_DEP_1)
	v_and_or_b32 v2, 0x8000, v8, v2
	global_store_b16 v[6:7], v2, off
.LBB71_36:                              ;   in Loop: Header=BB71_3 Depth=1
	s_and_not1_b32 vcc_lo, exec_lo, s0
	s_cbranch_vccnz .LBB71_2
; %bb.37:                               ;   in Loop: Header=BB71_3 Depth=1
	s_wait_xcnt 0x0
	v_and_or_b32 v2, 0x1ff, v5, v4
	v_lshrrev_b32_e32 v4, 8, v5
	v_bfe_u32 v8, v5, 20, 11
	s_delay_alu instid0(VALU_DEP_3) | instskip(NEXT) | instid1(VALU_DEP_2)
	v_cmp_ne_u32_e32 vcc_lo, 0, v2
	v_sub_nc_u32_e32 v9, 0x3f1, v8
	v_add_nc_u32_e32 v8, 0xfffffc10, v8
	v_cndmask_b32_e64 v2, 0, 1, vcc_lo
	s_delay_alu instid0(VALU_DEP_1) | instskip(NEXT) | instid1(VALU_DEP_4)
	v_and_or_b32 v2, 0xffe, v4, v2
	v_med3_i32 v4, v9, 0, 13
	s_delay_alu instid0(VALU_DEP_2) | instskip(NEXT) | instid1(VALU_DEP_1)
	v_or_b32_e32 v9, 0x1000, v2
	v_lshrrev_b32_e32 v10, v4, v9
	s_delay_alu instid0(VALU_DEP_1) | instskip(NEXT) | instid1(VALU_DEP_1)
	v_lshlrev_b32_e32 v4, v4, v10
	v_cmp_ne_u32_e32 vcc_lo, v4, v9
	v_lshl_or_b32 v9, v8, 12, v2
	v_cndmask_b32_e64 v4, 0, 1, vcc_lo
	v_cmp_gt_i32_e32 vcc_lo, 1, v8
	s_delay_alu instid0(VALU_DEP_2) | instskip(NEXT) | instid1(VALU_DEP_1)
	v_or_b32_e32 v4, v10, v4
	v_cndmask_b32_e32 v4, v9, v4, vcc_lo
	s_delay_alu instid0(VALU_DEP_1) | instskip(NEXT) | instid1(VALU_DEP_1)
	v_dual_lshrrev_b32 v4, 2, v4 :: v_dual_bitop2_b32 v9, 7, v4 bitop3:0x40
	v_cmp_lt_i32_e32 vcc_lo, 5, v9
	v_cndmask_b32_e64 v10, 0, 1, vcc_lo
	v_cmp_eq_u32_e32 vcc_lo, 3, v9
	v_cndmask_b32_e64 v9, 0, 1, vcc_lo
	v_cmp_ne_u32_e32 vcc_lo, 0, v2
	s_delay_alu instid0(VALU_DEP_2) | instskip(SKIP_2) | instid1(VALU_DEP_3)
	v_or_b32_e32 v9, v9, v10
	v_cndmask_b32_e32 v2, 0x7c00, v1, vcc_lo
	v_cmp_gt_i32_e32 vcc_lo, 31, v8
	v_add_nc_u32_e32 v4, v4, v9
	s_delay_alu instid0(VALU_DEP_1) | instskip(SKIP_1) | instid1(VALU_DEP_2)
	v_cndmask_b32_e32 v4, 0x7c00, v4, vcc_lo
	v_cmp_eq_u32_e32 vcc_lo, 0x40f, v8
	v_dual_cndmask_b32 v2, v4, v2, vcc_lo :: v_dual_lshrrev_b32 v4, 16, v5
	s_delay_alu instid0(VALU_DEP_1)
	v_and_or_b32 v2, 0x8000, v4, v2
	global_store_b16 v[6:7], v2, off
	s_branch .LBB71_2
.LBB71_38:
	s_endpgm
	.section	.rodata,"a",@progbits
	.p2align	6, 0x0
	.amdhsa_kernel naive_conv_ab_nonpacked_bwd_ncdhw_half_double_half
		.amdhsa_group_segment_fixed_size 0
		.amdhsa_private_segment_fixed_size 0
		.amdhsa_kernarg_size 528
		.amdhsa_user_sgpr_count 2
		.amdhsa_user_sgpr_dispatch_ptr 0
		.amdhsa_user_sgpr_queue_ptr 0
		.amdhsa_user_sgpr_kernarg_segment_ptr 1
		.amdhsa_user_sgpr_dispatch_id 0
		.amdhsa_user_sgpr_kernarg_preload_length 0
		.amdhsa_user_sgpr_kernarg_preload_offset 0
		.amdhsa_user_sgpr_private_segment_size 0
		.amdhsa_wavefront_size32 1
		.amdhsa_uses_dynamic_stack 0
		.amdhsa_enable_private_segment 0
		.amdhsa_system_sgpr_workgroup_id_x 1
		.amdhsa_system_sgpr_workgroup_id_y 0
		.amdhsa_system_sgpr_workgroup_id_z 0
		.amdhsa_system_sgpr_workgroup_info 0
		.amdhsa_system_vgpr_workitem_id 0
		.amdhsa_next_free_vgpr 24
		.amdhsa_next_free_sgpr 95
		.amdhsa_named_barrier_count 0
		.amdhsa_reserve_vcc 1
		.amdhsa_float_round_mode_32 0
		.amdhsa_float_round_mode_16_64 0
		.amdhsa_float_denorm_mode_32 3
		.amdhsa_float_denorm_mode_16_64 3
		.amdhsa_fp16_overflow 0
		.amdhsa_memory_ordered 1
		.amdhsa_forward_progress 1
		.amdhsa_inst_pref_size 26
		.amdhsa_round_robin_scheduling 0
		.amdhsa_exception_fp_ieee_invalid_op 0
		.amdhsa_exception_fp_denorm_src 0
		.amdhsa_exception_fp_ieee_div_zero 0
		.amdhsa_exception_fp_ieee_overflow 0
		.amdhsa_exception_fp_ieee_underflow 0
		.amdhsa_exception_fp_ieee_inexact 0
		.amdhsa_exception_int_div_zero 0
	.end_amdhsa_kernel
	.text
.Lfunc_end71:
	.size	naive_conv_ab_nonpacked_bwd_ncdhw_half_double_half, .Lfunc_end71-naive_conv_ab_nonpacked_bwd_ncdhw_half_double_half
                                        ; -- End function
	.set naive_conv_ab_nonpacked_bwd_ncdhw_half_double_half.num_vgpr, 24
	.set naive_conv_ab_nonpacked_bwd_ncdhw_half_double_half.num_agpr, 0
	.set naive_conv_ab_nonpacked_bwd_ncdhw_half_double_half.numbered_sgpr, 95
	.set naive_conv_ab_nonpacked_bwd_ncdhw_half_double_half.num_named_barrier, 0
	.set naive_conv_ab_nonpacked_bwd_ncdhw_half_double_half.private_seg_size, 0
	.set naive_conv_ab_nonpacked_bwd_ncdhw_half_double_half.uses_vcc, 1
	.set naive_conv_ab_nonpacked_bwd_ncdhw_half_double_half.uses_flat_scratch, 0
	.set naive_conv_ab_nonpacked_bwd_ncdhw_half_double_half.has_dyn_sized_stack, 0
	.set naive_conv_ab_nonpacked_bwd_ncdhw_half_double_half.has_recursion, 0
	.set naive_conv_ab_nonpacked_bwd_ncdhw_half_double_half.has_indirect_call, 0
	.section	.AMDGPU.csdata,"",@progbits
; Kernel info:
; codeLenInByte = 3304
; TotalNumSgprs: 97
; NumVgprs: 24
; ScratchSize: 0
; MemoryBound: 0
; FloatMode: 240
; IeeeMode: 1
; LDSByteSize: 0 bytes/workgroup (compile time only)
; SGPRBlocks: 0
; VGPRBlocks: 1
; NumSGPRsForWavesPerEU: 97
; NumVGPRsForWavesPerEU: 24
; NamedBarCnt: 0
; Occupancy: 16
; WaveLimiterHint : 1
; COMPUTE_PGM_RSRC2:SCRATCH_EN: 0
; COMPUTE_PGM_RSRC2:USER_SGPR: 2
; COMPUTE_PGM_RSRC2:TRAP_HANDLER: 0
; COMPUTE_PGM_RSRC2:TGID_X_EN: 1
; COMPUTE_PGM_RSRC2:TGID_Y_EN: 0
; COMPUTE_PGM_RSRC2:TGID_Z_EN: 0
; COMPUTE_PGM_RSRC2:TIDIG_COMP_CNT: 0
	.text
	.protected	naive_conv_ab_packed_bwd_ncdhw_ushort_double_ushort ; -- Begin function naive_conv_ab_packed_bwd_ncdhw_ushort_double_ushort
	.globl	naive_conv_ab_packed_bwd_ncdhw_ushort_double_ushort
	.p2align	8
	.type	naive_conv_ab_packed_bwd_ncdhw_ushort_double_ushort,@function
naive_conv_ab_packed_bwd_ncdhw_ushort_double_ushort: ; @naive_conv_ab_packed_bwd_ncdhw_ushort_double_ushort
; %bb.0:
	s_load_b512 s[4:19], s[0:1], 0xb8
	s_bfe_u32 s2, ttmp6, 0x4000c
	s_and_b32 s3, ttmp6, 15
	s_add_co_i32 s2, s2, 1
	s_getreg_b32 s20, hwreg(HW_REG_IB_STS2, 6, 4)
	s_mul_i32 s2, ttmp9, s2
	s_mov_b32 s26, exec_lo
	s_add_co_i32 s3, s3, s2
	s_cmp_eq_u32 s20, 0
	s_cselect_b32 s20, ttmp9, s3
	s_wait_kmcnt 0x0
	s_abs_i32 s3, s9
	s_mul_i32 s48, s6, s5
	s_cvt_f32_u32 s2, s3
	s_mul_i32 s33, s48, s4
	s_delay_alu instid0(SALU_CYCLE_2) | instskip(SKIP_1) | instid1(TRANS32_DEP_1)
	v_rcp_iflag_f32_e32 v1, s2
	v_nop
	v_readfirstlane_b32 s2, v1
	s_mul_f32 s2, s2, 0x4f7ffffe
	s_delay_alu instid0(SALU_CYCLE_3) | instskip(SKIP_1) | instid1(SALU_CYCLE_2)
	s_cvt_u32_f32 s21, s2
	s_sub_co_i32 s2, 0, s3
	s_mul_i32 s2, s2, s21
	s_delay_alu instid0(SALU_CYCLE_1) | instskip(SKIP_2) | instid1(SALU_CYCLE_1)
	s_mul_hi_u32 s22, s21, s2
	s_abs_i32 s2, s20
	s_add_co_i32 s21, s21, s22
	s_mul_hi_u32 s21, s2, s21
	s_delay_alu instid0(SALU_CYCLE_1) | instskip(SKIP_2) | instid1(SALU_CYCLE_1)
	s_mul_i32 s22, s21, s3
	s_add_co_i32 s23, s21, 1
	s_sub_co_i32 s22, s2, s22
	s_sub_co_i32 s24, s22, s3
	s_cmp_ge_u32 s22, s3
	s_cselect_b32 s21, s23, s21
	s_cselect_b32 s22, s24, s22
	s_add_co_i32 s23, s21, 1
	s_cmp_ge_u32 s22, s3
	s_mul_i32 s22, s9, s7
	s_cselect_b32 s24, s23, s21
	s_abs_i32 s21, s7
	s_abs_i32 s7, s22
	s_cvt_f32_u32 s3, s21
	s_cvt_f32_u32 s23, s7
	s_delay_alu instid0(SALU_CYCLE_2) | instskip(NEXT) | instid1(SALU_CYCLE_2)
	v_rcp_iflag_f32_e32 v1, s3
	v_rcp_iflag_f32_e32 v2, s23
	s_mov_b32 s3, 0
	s_delay_alu instid0(TRANS32_DEP_2) | instskip(NEXT) | instid1(TRANS32_DEP_1)
	v_readfirstlane_b32 s25, v1
	v_readfirstlane_b32 s23, v2
	v_cmpx_gt_i32_e64 s33, v0
	s_cbranch_execz .LBB72_38
; %bb.1:
	s_ashr_i32 s30, s20, 31
	s_ashr_i32 s53, s9, 31
	s_mul_f32 s25, s25, 0x4f7ffffe
	s_xor_b32 s26, s30, s53
	s_mul_f32 s23, s23, 0x4f7ffffe
	s_xor_b32 s24, s24, s26
	s_cvt_u32_f32 s25, s25
	s_sub_co_i32 s28, s24, s26
	s_sub_co_i32 s24, 0, s21
	s_cvt_u32_f32 s23, s23
	s_mul_i32 s24, s24, s25
	s_sub_co_i32 s29, 0, s7
	s_mul_hi_u32 s26, s25, s24
	s_abs_i32 s24, s28
	s_add_co_i32 s26, s25, s26
	s_mov_b32 s25, s3
	s_mov_b32 s27, s3
	s_mul_i32 s29, s29, s23
	s_mul_u64 s[26:27], s[24:25], s[26:27]
	s_mul_hi_u32 s25, s23, s29
	s_ashr_i32 s26, s22, 31
	s_add_co_i32 s22, s23, s25
	s_mul_i32 s23, s27, s21
	s_ashr_i32 s31, s28, 31
	s_mul_i32 s28, s28, s9
	s_sub_co_i32 s23, s24, s23
	s_sub_co_i32 s54, s20, s28
	s_sub_co_i32 s20, s23, s21
	s_cmp_ge_u32 s23, s21
	s_clause 0x1
	s_load_b64 s[34:35], s[0:1], 0x108
	s_load_b32 s49, s[0:1], 0x11c
	s_cselect_b32 s20, s20, s23
	s_mov_b32 s44, s4
	s_sub_co_i32 s23, s20, s21
	s_cmp_ge_u32 s20, s21
	s_mov_b32 s52, s9
	s_cselect_b32 s20, s23, s20
	s_mov_b32 s23, s3
	s_xor_b32 s20, s20, s31
	s_mul_u64 s[28:29], s[2:3], s[22:23]
	s_sub_co_i32 s40, s20, s31
	s_mul_i32 s20, s29, s7
	s_xor_b32 s38, s30, s26
	s_sub_co_i32 s2, s2, s20
	s_add_co_i32 s28, s29, 1
	s_sub_co_i32 s30, s2, s7
	s_cmp_ge_u32 s2, s7
	s_load_b256 s[20:27], s[0:1], 0x0
	s_cselect_b32 s36, s28, s29
	s_cselect_b32 s2, s30, s2
	s_add_co_i32 s37, s36, 1
	s_cmp_ge_u32 s2, s7
	s_load_b128 s[28:31], s[0:1], 0xf8
	s_cselect_b32 s2, s37, s36
	s_wait_kmcnt 0x0
	s_mul_i32 s36, s35, s9
	s_xor_b32 s2, s2, s38
	s_ashr_i32 s41, s40, 31
	s_ashr_i32 s37, s36, 31
	s_sub_co_i32 s38, s2, s38
	s_mul_u64 s[42:43], s[40:41], s[36:37]
	s_ashr_i32 s45, s4, 31
	s_ashr_i32 s37, s5, 31
	s_mov_b32 s36, s5
	s_ashr_i32 s39, s38, 31
	s_ashr_i32 s55, s54, 31
	;; [unrolled: 1-line block ×3, first 2 shown]
	s_mul_u64 s[46:47], s[38:39], s[52:53]
	s_add_nc_u64 s[42:43], s[42:43], s[54:55]
	s_mul_u64 s[44:45], s[36:37], s[44:45]
	s_add_nc_u64 s[42:43], s[42:43], s[46:47]
	s_mul_u64 s[44:45], s[44:45], s[6:7]
	s_mul_i32 s46, s35, s8
	s_mul_u64 s[42:43], s[44:45], s[42:43]
	s_ashr_i32 s47, s46, 31
	s_ashr_i32 s9, s8, 31
	s_lshl_b64 s[50:51], s[42:43], 1
	s_mul_u64 s[44:45], s[40:41], s[46:47]
	s_ashr_i32 s41, s10, 31
	s_mov_b32 s40, s10
	s_ashr_i32 s43, s11, 31
	s_mov_b32 s42, s11
	;; [unrolled: 2-line block ×3, first 2 shown]
	v_cmp_neq_f64_e64 s2, s[24:25], 1.0
	v_cmp_neq_f64_e64 s12, s[26:27], 0
	s_mul_u64 s[56:57], s[38:39], s[8:9]
	s_mul_u64 s[46:47], s[42:43], s[40:41]
	s_add_nc_u64 s[58:59], s[56:57], s[44:45]
	s_mul_u64 s[46:47], s[46:47], s[10:11]
	s_ashr_i32 s35, s34, 31
	s_mul_u64 s[46:47], s[46:47], s[58:59]
	s_load_b64 s[58:59], s[0:1], 0x20
	s_ashr_i32 s39, s30, 31
	s_ashr_i32 s45, s31, 31
	s_lshl_b64 s[46:47], s[46:47], 1
	s_cmp_gt_i32 s8, 0
	s_mov_b32 s44, s31
	s_cselect_b32 s9, -1, 0
	s_cmp_gt_i32 s30, 0
	s_mov_b32 s38, s30
	s_cselect_b32 s37, -1, 0
	s_cmp_gt_i32 s31, 0
	v_mov_b32_e32 v3, 0
	s_cselect_b32 s66, -1, 0
	s_cmp_gt_i32 s34, 0
	s_cselect_b32 s67, -1, 0
	s_abs_i32 s68, s6
	s_abs_i32 s69, s5
	s_wait_xcnt 0x0
	s_cvt_f32_u32 s0, s68
	s_abs_i32 s70, s48
	s_add_nc_u64 s[4:5], s[20:21], s[50:51]
	s_abs_i32 s73, s13
	v_rcp_iflag_f32_e32 v1, s0
	s_cvt_f32_u32 s0, s69
	s_wait_kmcnt 0x0
	s_add_nc_u64 s[20:21], s[58:59], s[46:47]
	s_or_b32 s71, s2, s12
	s_cvt_f32_u32 s2, s70
	v_rcp_iflag_f32_e32 v2, s0
	s_cvt_f32_u32 s47, s73
	v_readfirstlane_b32 s50, v1
	v_rcp_iflag_f32_e32 v1, s2
	s_and_b32 s72, s49, 0xffff
	s_abs_i32 s74, s14
	s_abs_i32 s76, s15
	v_readfirstlane_b32 s31, v2
	s_mul_f32 s30, s50, 0x4f7ffffe
	s_sub_co_i32 s50, 0, s70
	s_ashr_i32 s75, s48, 31
	s_ashr_i32 s77, s13, 31
	s_mul_f32 s31, s31, 0x4f7ffffe
	s_cvt_u32_f32 s12, s30
	s_sub_co_i32 s30, 0, s68
	s_sub_co_i32 s51, 0, s74
	s_cvt_u32_f32 s46, s31
	v_readfirstlane_b32 s31, v1
	s_mul_i32 s30, s30, s12
	v_rcp_iflag_f32_e32 v1, s47
	s_mul_hi_u32 s2, s12, s30
	s_sub_co_i32 s30, 0, s69
	s_mul_u64 s[0:1], s[56:57], s[52:53]
	s_mul_i32 s49, s30, s46
	s_add_co_i32 s30, s12, s2
	s_mul_f32 s12, s31, 0x4f7ffffe
	s_mul_hi_u32 s2, s46, s49
	s_cvt_f32_u32 s49, s74
	s_add_co_i32 s46, s46, s2
	s_cvt_u32_f32 s2, s12
	v_nop
	v_readfirstlane_b32 s12, v1
	v_rcp_iflag_f32_e32 v1, s49
	s_cvt_f32_u32 s49, s76
	s_mul_i32 s50, s50, s2
	s_ashr_i32 s78, s14, 31
	s_mul_f32 s12, s12, 0x4f7ffffe
	s_mul_hi_u32 s48, s2, s50
	s_sub_co_i32 s50, 0, s73
	s_add_co_i32 s48, s2, s48
	s_cvt_u32_f32 s2, s12
	v_nop
	v_readfirstlane_b32 s12, v1
	v_rcp_iflag_f32_e32 v1, s49
	s_mul_u64 s[56:57], s[34:35], s[44:45]
	s_mul_i32 s50, s50, s2
	s_add_nc_u64 s[0:1], s[0:1], s[54:55]
	s_mul_f32 s13, s12, 0x4f7ffffe
	s_mul_hi_u32 s12, s2, s50
	s_mul_u64 s[54:55], s[56:57], s[38:39]
	v_nop
	v_readfirstlane_b32 s50, v1
	s_add_co_i32 s12, s2, s12
	s_cvt_u32_f32 s2, s13
	s_mul_u64 s[0:1], s[54:55], s[0:1]
	s_mul_u64 s[52:53], s[54:55], s[52:53]
	s_mul_f32 s50, s50, 0x4f7ffffe
	s_mul_i32 s51, s51, s2
	s_lshl_b64 s[0:1], s[0:1], 1
	s_mul_hi_u32 s14, s2, s51
	s_cvt_u32_f32 s58, s50
	s_add_co_i32 s50, s2, s14
	s_sub_co_i32 s2, 0, s76
	s_mov_b32 s31, s3
	s_mul_i32 s2, s2, s58
	s_mov_b32 s47, s3
	s_mul_hi_u32 s2, s58, s2
	s_mov_b32 s49, s3
	s_mov_b32 s13, s3
	;; [unrolled: 1-line block ×3, first 2 shown]
	s_ashr_i32 s79, s15, 31
	s_add_co_i32 s14, s58, s2
	s_mov_b32 s15, s3
	s_add_nc_u64 s[22:23], s[22:23], s[0:1]
	s_lshl_b64 s[52:53], s[52:53], 1
	s_lshl_b64 s[54:55], s[56:57], 1
	;; [unrolled: 1-line block ×3, first 2 shown]
	s_mov_b32 s35, 0
	s_branch .LBB72_3
.LBB72_2:                               ;   in Loop: Header=BB72_3 Depth=1
	v_add_nc_u32_e32 v0, s72, v0
	s_delay_alu instid0(VALU_DEP_1)
	v_cmp_le_i32_e32 vcc_lo, s33, v0
	s_or_b32 s35, vcc_lo, s35
	s_wait_xcnt 0x0
	s_and_not1_b32 exec_lo, exec_lo, s35
	s_cbranch_execz .LBB72_38
.LBB72_3:                               ; =>This Loop Header: Depth=1
                                        ;     Child Loop BB72_6 Depth 2
                                        ;       Child Loop BB72_9 Depth 3
                                        ;         Child Loop BB72_18 Depth 4
                                        ;           Child Loop BB72_25 Depth 5
	v_dual_sub_nc_u32 v1, 0, v0 :: v_dual_ashrrev_i32 v10, 31, v0
	s_delay_alu instid0(VALU_DEP_1) | instskip(NEXT) | instid1(VALU_DEP_1)
	v_max_i32_e32 v2, v0, v1
	v_mul_u64_e32 v[4:5], s[30:31], v[2:3]
	s_delay_alu instid0(VALU_DEP_1) | instskip(SKIP_1) | instid1(VALU_DEP_2)
	v_mul_lo_u32 v1, v5, s68
	v_add_nc_u32_e32 v4, 1, v5
	v_sub_nc_u32_e32 v1, v2, v1
	s_delay_alu instid0(VALU_DEP_1) | instskip(SKIP_1) | instid1(VALU_DEP_4)
	v_subrev_nc_u32_e32 v6, s68, v1
	v_cmp_le_u32_e32 vcc_lo, s68, v1
	v_cndmask_b32_e32 v4, v5, v4, vcc_lo
	s_delay_alu instid0(VALU_DEP_3) | instskip(SKIP_1) | instid1(VALU_DEP_3)
	v_cndmask_b32_e32 v1, v1, v6, vcc_lo
	v_mul_u64_e32 v[8:9], s[48:49], v[2:3]
	v_add_nc_u32_e32 v5, 1, v4
	s_delay_alu instid0(VALU_DEP_3) | instskip(NEXT) | instid1(VALU_DEP_2)
	v_cmp_le_u32_e32 vcc_lo, s68, v1
	v_dual_cndmask_b32 v1, v4, v5, vcc_lo :: v_dual_bitop2_b32 v6, s7, v10 bitop3:0x14
	s_delay_alu instid0(VALU_DEP_1) | instskip(NEXT) | instid1(VALU_DEP_1)
	v_dual_mov_b32 v5, v3 :: v_dual_bitop2_b32 v1, v1, v6 bitop3:0x14
	v_sub_nc_u32_e32 v1, v1, v6
	s_delay_alu instid0(VALU_DEP_1) | instskip(NEXT) | instid1(VALU_DEP_1)
	v_sub_nc_u32_e32 v4, 0, v1
	v_max_i32_e32 v4, v1, v4
	s_delay_alu instid0(VALU_DEP_1) | instskip(SKIP_1) | instid1(VALU_DEP_1)
	v_mul_u64_e32 v[6:7], s[46:47], v[4:5]
	v_mul_lo_u32 v6, v9, s70
	v_dual_sub_nc_u32 v2, v2, v6 :: v_dual_add_nc_u32 v6, 1, v9
	s_delay_alu instid0(VALU_DEP_1) | instskip(NEXT) | instid1(VALU_DEP_4)
	v_cmp_le_u32_e32 vcc_lo, s70, v2
	v_mul_lo_u32 v5, v7, s69
	v_subrev_nc_u32_e32 v7, s70, v2
	s_delay_alu instid0(VALU_DEP_1) | instskip(SKIP_1) | instid1(VALU_DEP_2)
	v_dual_cndmask_b32 v2, v2, v7, vcc_lo :: v_dual_sub_nc_u32 v4, v4, v5
	v_mul_lo_u32 v8, v1, s6
	v_subrev_nc_u32_e32 v5, s69, v4
	v_cmp_le_u32_e64 s0, s69, v4
	s_delay_alu instid0(VALU_DEP_1) | instskip(SKIP_1) | instid1(VALU_DEP_2)
	v_dual_cndmask_b32 v4, v4, v5, s0 :: v_dual_cndmask_b32 v5, v9, v6, vcc_lo
	v_xor_b32_e32 v9, s75, v10
	v_subrev_nc_u32_e32 v6, s69, v4
	v_cmp_le_u32_e32 vcc_lo, s69, v4
	s_delay_alu instid0(VALU_DEP_2) | instskip(SKIP_2) | instid1(VALU_DEP_1)
	v_dual_cndmask_b32 v4, v4, v6 :: v_dual_add_nc_u32 v7, 1, v5
	v_cmp_le_u32_e32 vcc_lo, s70, v2
	v_dual_ashrrev_i32 v1, 31, v1 :: v_dual_sub_nc_u32 v6, v0, v8
	v_dual_cndmask_b32 v2, v5, v7, vcc_lo :: v_dual_bitop2_b32 v4, v4, v1 bitop3:0x14
	s_and_not1_b32 vcc_lo, exec_lo, s9
	s_delay_alu instid0(VALU_DEP_1) | instskip(NEXT) | instid1(VALU_DEP_2)
	v_xor_b32_e32 v2, v2, v9
	v_sub_nc_u32_e32 v8, v4, v1
	s_delay_alu instid0(VALU_DEP_2)
	v_sub_nc_u32_e32 v1, v2, v9
	s_cbranch_vccnz .LBB72_33
; %bb.4:                                ;   in Loop: Header=BB72_3 Depth=1
	v_mov_b64_e32 v[4:5], 0
	s_delay_alu instid0(VALU_DEP_2)
	v_dual_add_nc_u32 v7, s19, v1 :: v_dual_add_nc_u32 v9, s28, v8
	v_add_nc_u32_e32 v16, s29, v6
	s_mov_b32 s2, 0
	s_mov_b64 s[0:1], s[22:23]
	s_branch .LBB72_6
.LBB72_5:                               ;   in Loop: Header=BB72_6 Depth=2
	s_add_co_i32 s2, s2, 1
	s_add_nc_u64 s[0:1], s[0:1], s[52:53]
	s_cmp_eq_u32 s2, s8
	s_cbranch_scc1 .LBB72_34
.LBB72_6:                               ;   Parent Loop BB72_3 Depth=1
                                        ; =>  This Loop Header: Depth=2
                                        ;       Child Loop BB72_9 Depth 3
                                        ;         Child Loop BB72_18 Depth 4
                                        ;           Child Loop BB72_25 Depth 5
	s_and_not1_b32 vcc_lo, exec_lo, s37
	s_cbranch_vccnz .LBB72_5
; %bb.7:                                ;   in Loop: Header=BB72_6 Depth=2
	s_mul_u64 s[58:59], s[2:3], s[40:41]
	s_mov_b32 s39, 0
	s_mov_b64 s[60:61], s[0:1]
	s_branch .LBB72_9
.LBB72_8:                               ;   in Loop: Header=BB72_9 Depth=3
	s_add_co_i32 s39, s39, 1
	s_add_nc_u64 s[60:61], s[60:61], s[54:55]
	s_cmp_eq_u32 s39, s38
	s_cbranch_scc1 .LBB72_5
.LBB72_9:                               ;   Parent Loop BB72_3 Depth=1
                                        ;     Parent Loop BB72_6 Depth=2
                                        ; =>    This Loop Header: Depth=3
                                        ;         Child Loop BB72_18 Depth 4
                                        ;           Child Loop BB72_25 Depth 5
	s_mul_i32 s45, s16, s39
	s_mov_b32 s62, exec_lo
	v_subrev_nc_u32_e32 v14, s45, v7
	s_mov_b32 s45, 0
                                        ; implicit-def: $vgpr11
                                        ; implicit-def: $vgpr10
                                        ; implicit-def: $vgpr13
	s_delay_alu instid0(VALU_DEP_1) | instskip(NEXT) | instid1(VALU_DEP_1)
	v_dual_sub_nc_u32 v2, 0, v14 :: v_dual_ashrrev_i32 v12, 31, v14
	v_max_i32_e32 v2, v14, v2
	v_cmpx_lt_i32_e32 -1, v14
	s_xor_b32 s62, exec_lo, s62
	s_cbranch_execnz .LBB72_13
; %bb.10:                               ;   in Loop: Header=BB72_9 Depth=3
	s_and_not1_saveexec_b32 s62, s62
	s_cbranch_execnz .LBB72_14
.LBB72_11:                              ;   in Loop: Header=BB72_9 Depth=3
	s_or_b32 exec_lo, exec_lo, s62
	v_mov_b32_e32 v2, 1
	s_and_saveexec_b32 s62, s45
	s_cbranch_execnz .LBB72_15
.LBB72_12:                              ;   in Loop: Header=BB72_9 Depth=3
	s_or_b32 exec_lo, exec_lo, s62
	s_delay_alu instid0(SALU_CYCLE_1)
	s_and_not1_b32 vcc_lo, exec_lo, s66
	s_cbranch_vccz .LBB72_16
	s_branch .LBB72_8
.LBB72_13:                              ;   in Loop: Header=BB72_9 Depth=3
	s_delay_alu instid0(VALU_DEP_2) | instskip(SKIP_1) | instid1(VALU_DEP_2)
	v_mul_u64_e32 v[10:11], s[12:13], v[2:3]
	v_ashrrev_i32_e32 v12, 31, v14
	v_mul_lo_u32 v10, v11, s73
	s_delay_alu instid0(VALU_DEP_1) | instskip(NEXT) | instid1(VALU_DEP_1)
	v_sub_nc_u32_e32 v10, v2, v10
	v_subrev_nc_u32_e32 v13, s73, v10
	v_cmp_le_u32_e32 vcc_lo, s73, v10
	s_delay_alu instid0(VALU_DEP_2) | instskip(NEXT) | instid1(VALU_DEP_1)
	v_cndmask_b32_e32 v2, v10, v13, vcc_lo
	v_subrev_nc_u32_e32 v15, s73, v2
	v_cmp_le_u32_e32 vcc_lo, s73, v2
	s_delay_alu instid0(VALU_DEP_2) | instskip(NEXT) | instid1(VALU_DEP_1)
	v_cndmask_b32_e32 v2, v2, v15, vcc_lo
	v_xor_b32_e32 v2, v2, v12
	s_delay_alu instid0(VALU_DEP_1) | instskip(NEXT) | instid1(VALU_DEP_1)
	v_sub_nc_u32_e32 v2, v2, v12
	v_cmp_ne_u32_e32 vcc_lo, 0, v2
	s_and_b32 s45, vcc_lo, exec_lo
	s_and_not1_saveexec_b32 s62, s62
	s_cbranch_execz .LBB72_11
.LBB72_14:                              ;   in Loop: Header=BB72_9 Depth=3
	v_mul_u64_e32 v[10:11], s[12:13], v[2:3]
	s_or_b32 s45, s45, exec_lo
	s_delay_alu instid0(VALU_DEP_1) | instskip(NEXT) | instid1(VALU_DEP_1)
	v_mul_lo_u32 v10, v11, s73
	v_sub_nc_u32_e32 v10, v2, v10
	s_delay_alu instid0(VALU_DEP_1)
	v_subrev_nc_u32_e32 v13, s73, v10
	s_or_b32 exec_lo, exec_lo, s62
	v_mov_b32_e32 v2, 1
	s_and_saveexec_b32 s62, s45
	s_cbranch_execz .LBB72_12
.LBB72_15:                              ;   in Loop: Header=BB72_9 Depth=3
	v_mov_b32_e32 v2, 0
	s_or_b32 exec_lo, exec_lo, s62
	s_delay_alu instid0(SALU_CYCLE_1)
	s_and_not1_b32 vcc_lo, exec_lo, s66
	s_cbranch_vccnz .LBB72_8
.LBB72_16:                              ;   in Loop: Header=BB72_9 Depth=3
	v_cmp_le_u32_e32 vcc_lo, s73, v10
	v_add_nc_u32_e32 v14, 1, v11
	s_mov_b32 s45, 0
	s_mov_b64 s[62:63], s[60:61]
	v_dual_cndmask_b32 v10, v10, v13, vcc_lo :: v_dual_bitop2_b32 v12, s77, v12 bitop3:0x14
	s_delay_alu instid0(VALU_DEP_2) | instskip(NEXT) | instid1(VALU_DEP_2)
	v_cndmask_b32_e32 v11, v11, v14, vcc_lo
	v_cmp_le_u32_e32 vcc_lo, s73, v10
	s_delay_alu instid0(VALU_DEP_2) | instskip(NEXT) | instid1(VALU_DEP_1)
	v_add_nc_u32_e32 v13, 1, v11
	v_cndmask_b32_e32 v10, v11, v13, vcc_lo
	s_delay_alu instid0(VALU_DEP_1) | instskip(NEXT) | instid1(VALU_DEP_1)
	v_xor_b32_e32 v10, v10, v12
	v_sub_nc_u32_e32 v12, v10, v12
	s_delay_alu instid0(VALU_DEP_1) | instskip(SKIP_1) | instid1(VALU_DEP_1)
	v_cmp_gt_i32_e32 vcc_lo, s40, v12
	v_dual_cndmask_b32 v17, 0, v2, vcc_lo :: v_dual_ashrrev_i32 v13, 31, v12
	v_add_nc_u64_e32 v[10:11], s[58:59], v[12:13]
	s_delay_alu instid0(VALU_DEP_1)
	v_mul_u64_e32 v[10:11], s[42:43], v[10:11]
	s_branch .LBB72_18
.LBB72_17:                              ;   in Loop: Header=BB72_18 Depth=4
	s_add_co_i32 s45, s45, 1
	s_add_nc_u64 s[62:63], s[62:63], s[56:57]
	s_cmp_eq_u32 s45, s44
	s_cbranch_scc1 .LBB72_8
.LBB72_18:                              ;   Parent Loop BB72_3 Depth=1
                                        ;     Parent Loop BB72_6 Depth=2
                                        ;       Parent Loop BB72_9 Depth=3
                                        ; =>      This Loop Header: Depth=4
                                        ;           Child Loop BB72_25 Depth 5
	s_mul_i32 s64, s17, s45
	s_delay_alu instid0(SALU_CYCLE_1) | instskip(NEXT) | instid1(VALU_DEP_1)
	v_subrev_nc_u32_e32 v2, s64, v9
	v_dual_sub_nc_u32 v13, 0, v2 :: v_dual_ashrrev_i32 v12, 31, v2
	v_cmp_gt_i32_e64 s64, 0, v2
	v_cmp_lt_i32_e32 vcc_lo, -1, v2
	s_delay_alu instid0(VALU_DEP_3)
	v_max_i32_e32 v2, v2, v13
	s_and_saveexec_b32 s65, vcc_lo
	s_cbranch_execnz .LBB72_21
; %bb.19:                               ;   in Loop: Header=BB72_18 Depth=4
	s_or_b32 exec_lo, exec_lo, s65
	v_mov_b32_e32 v13, 1
	s_and_saveexec_b32 s65, s64
	s_cbranch_execnz .LBB72_22
.LBB72_20:                              ;   in Loop: Header=BB72_18 Depth=4
	s_or_b32 exec_lo, exec_lo, s65
	s_delay_alu instid0(SALU_CYCLE_1)
	s_and_not1_b32 vcc_lo, exec_lo, s67
	s_cbranch_vccz .LBB72_23
	s_branch .LBB72_17
.LBB72_21:                              ;   in Loop: Header=BB72_18 Depth=4
	s_delay_alu instid0(VALU_DEP_1) | instskip(SKIP_1) | instid1(VALU_DEP_1)
	v_mul_u64_e32 v[14:15], s[50:51], v[2:3]
	s_and_not1_b32 s64, s64, exec_lo
	v_mul_lo_u32 v13, v15, s74
	s_delay_alu instid0(VALU_DEP_1) | instskip(NEXT) | instid1(VALU_DEP_1)
	v_sub_nc_u32_e32 v13, v2, v13
	v_subrev_nc_u32_e32 v14, s74, v13
	v_cmp_le_u32_e32 vcc_lo, s74, v13
	s_delay_alu instid0(VALU_DEP_2) | instskip(NEXT) | instid1(VALU_DEP_1)
	v_cndmask_b32_e32 v13, v13, v14, vcc_lo
	v_subrev_nc_u32_e32 v14, s74, v13
	v_cmp_le_u32_e32 vcc_lo, s74, v13
	s_delay_alu instid0(VALU_DEP_2) | instskip(NEXT) | instid1(VALU_DEP_1)
	v_cndmask_b32_e32 v13, v13, v14, vcc_lo
	v_xor_b32_e32 v13, v13, v12
	s_delay_alu instid0(VALU_DEP_1) | instskip(NEXT) | instid1(VALU_DEP_1)
	v_sub_nc_u32_e32 v13, v13, v12
	v_cmp_ne_u32_e32 vcc_lo, 0, v13
	s_and_b32 s80, vcc_lo, exec_lo
	s_delay_alu instid0(SALU_CYCLE_1)
	s_or_b32 s64, s64, s80
	s_or_b32 exec_lo, exec_lo, s65
	v_mov_b32_e32 v13, 1
	s_and_saveexec_b32 s65, s64
	s_cbranch_execz .LBB72_20
.LBB72_22:                              ;   in Loop: Header=BB72_18 Depth=4
	v_mov_b32_e32 v13, 0
	s_or_b32 exec_lo, exec_lo, s65
	s_delay_alu instid0(SALU_CYCLE_1)
	s_and_not1_b32 vcc_lo, exec_lo, s67
	s_cbranch_vccnz .LBB72_17
.LBB72_23:                              ;   in Loop: Header=BB72_18 Depth=4
	v_mul_u64_e32 v[14:15], s[50:51], v[2:3]
	s_mov_b64 s[64:65], s[62:63]
	s_mov_b32 s80, s34
	v_xor_b32_e32 v12, s78, v12
	s_delay_alu instid0(VALU_DEP_2) | instskip(NEXT) | instid1(VALU_DEP_1)
	v_mul_lo_u32 v14, v15, s74
	v_dual_sub_nc_u32 v2, v2, v14 :: v_dual_add_nc_u32 v14, 1, v15
	s_delay_alu instid0(VALU_DEP_1) | instskip(SKIP_1) | instid1(VALU_DEP_3)
	v_subrev_nc_u32_e32 v18, s74, v2
	v_cmp_le_u32_e32 vcc_lo, s74, v2
	v_cndmask_b32_e32 v14, v15, v14, vcc_lo
	s_delay_alu instid0(VALU_DEP_3) | instskip(NEXT) | instid1(VALU_DEP_2)
	v_cndmask_b32_e32 v2, v2, v18, vcc_lo
	v_add_nc_u32_e32 v15, 1, v14
	s_delay_alu instid0(VALU_DEP_2) | instskip(NEXT) | instid1(VALU_DEP_2)
	v_cmp_le_u32_e32 vcc_lo, s74, v2
	v_cndmask_b32_e32 v2, v14, v15, vcc_lo
	s_delay_alu instid0(VALU_DEP_1) | instskip(NEXT) | instid1(VALU_DEP_1)
	v_xor_b32_e32 v2, v2, v12
	v_sub_nc_u32_e32 v14, v2, v12
	s_delay_alu instid0(VALU_DEP_1) | instskip(SKIP_1) | instid1(VALU_DEP_1)
	v_cmp_gt_i32_e32 vcc_lo, s42, v14
	v_dual_cndmask_b32 v2, 0, v13 :: v_dual_ashrrev_i32 v15, 31, v14
	v_add_nc_u64_e32 v[18:19], v[10:11], v[14:15]
	s_delay_alu instid0(VALU_DEP_1) | instskip(NEXT) | instid1(VALU_DEP_3)
	v_mul_u64_e32 v[20:21], s[10:11], v[18:19]
	v_dual_mov_b32 v19, v16 :: v_dual_bitop2_b32 v18, v2, v17 bitop3:0x40
	s_delay_alu instid0(VALU_DEP_2)
	v_lshl_add_u64 v[12:13], v[20:21], 1, s[20:21]
	s_branch .LBB72_25
.LBB72_24:                              ;   in Loop: Header=BB72_25 Depth=5
	s_or_b32 exec_lo, exec_lo, s81
	v_subrev_nc_u32_e32 v19, s18, v19
	s_add_co_i32 s80, s80, -1
	s_add_nc_u64 s[64:65], s[64:65], 2
	s_cmp_eq_u32 s80, 0
	s_cbranch_scc1 .LBB72_17
.LBB72_25:                              ;   Parent Loop BB72_3 Depth=1
                                        ;     Parent Loop BB72_6 Depth=2
                                        ;       Parent Loop BB72_9 Depth=3
                                        ;         Parent Loop BB72_18 Depth=4
                                        ; =>        This Inner Loop Header: Depth=5
	s_delay_alu instid0(VALU_DEP_2) | instskip(SKIP_2) | instid1(VALU_DEP_1)
	v_dual_sub_nc_u32 v2, 0, v19 :: v_dual_ashrrev_i32 v20, 31, v19
	s_mov_b32 s81, 0
	s_mov_b32 s82, exec_lo
                                        ; implicit-def: $vgpr15
                                        ; implicit-def: $vgpr14
                                        ; implicit-def: $vgpr21
	v_max_i32_e32 v2, v19, v2
	v_cmpx_lt_i32_e32 -1, v19
	s_xor_b32 s82, exec_lo, s82
	s_cbranch_execnz .LBB72_31
; %bb.26:                               ;   in Loop: Header=BB72_25 Depth=5
	s_and_not1_saveexec_b32 s82, s82
	s_cbranch_execnz .LBB72_32
.LBB72_27:                              ;   in Loop: Header=BB72_25 Depth=5
	s_or_b32 exec_lo, exec_lo, s82
	v_mov_b32_e32 v2, 1
	s_and_saveexec_b32 s82, s81
.LBB72_28:                              ;   in Loop: Header=BB72_25 Depth=5
	v_mov_b32_e32 v2, 0
.LBB72_29:                              ;   in Loop: Header=BB72_25 Depth=5
	s_or_b32 exec_lo, exec_lo, s82
	v_cmp_le_u32_e32 vcc_lo, s76, v14
	v_add_nc_u32_e32 v22, 1, v15
	s_mov_b32 s81, exec_lo
	v_dual_cndmask_b32 v14, v14, v21, vcc_lo :: v_dual_bitop2_b32 v20, s79, v20 bitop3:0x14
	s_delay_alu instid0(VALU_DEP_2) | instskip(NEXT) | instid1(VALU_DEP_2)
	v_cndmask_b32_e32 v15, v15, v22, vcc_lo
	v_cmp_le_u32_e32 vcc_lo, s76, v14
	s_delay_alu instid0(VALU_DEP_2) | instskip(NEXT) | instid1(VALU_DEP_1)
	v_add_nc_u32_e32 v21, 1, v15
	v_cndmask_b32_e32 v14, v15, v21, vcc_lo
	s_delay_alu instid0(VALU_DEP_1) | instskip(NEXT) | instid1(VALU_DEP_1)
	v_xor_b32_e32 v14, v14, v20
	v_sub_nc_u32_e32 v14, v14, v20
	s_delay_alu instid0(VALU_DEP_1) | instskip(SKIP_1) | instid1(VALU_DEP_1)
	v_cmp_gt_i32_e32 vcc_lo, s10, v14
	v_cndmask_b32_e32 v2, 0, v2, vcc_lo
	v_and_b32_e32 v2, v18, v2
	s_delay_alu instid0(VALU_DEP_1) | instskip(NEXT) | instid1(VALU_DEP_1)
	v_and_b32_e32 v2, 1, v2
	v_cmpx_eq_u32_e32 1, v2
	s_cbranch_execz .LBB72_24
; %bb.30:                               ;   in Loop: Header=BB72_25 Depth=5
	v_ashrrev_i32_e32 v15, 31, v14
	s_load_u16 s82, s[64:65], 0x0
	s_delay_alu instid0(VALU_DEP_1)
	v_lshl_add_u64 v[14:15], v[14:15], 1, v[12:13]
	global_load_u16 v2, v[14:15], off
	s_wait_kmcnt 0x0
	s_lshl_b32 s82, s82, 16
	s_wait_xcnt 0x0
	v_cvt_f64_f32_e32 v[14:15], s82
	s_wait_loadcnt 0x0
	v_lshlrev_b32_e32 v2, 16, v2
	s_delay_alu instid0(VALU_DEP_1) | instskip(NEXT) | instid1(VALU_DEP_1)
	v_cvt_f64_f32_e32 v[20:21], v2
	v_fmac_f64_e32 v[4:5], v[20:21], v[14:15]
	s_branch .LBB72_24
.LBB72_31:                              ;   in Loop: Header=BB72_25 Depth=5
	s_delay_alu instid0(VALU_DEP_2) | instskip(SKIP_1) | instid1(VALU_DEP_2)
	v_mul_u64_e32 v[14:15], s[14:15], v[2:3]
	v_ashrrev_i32_e32 v20, 31, v19
	v_mul_lo_u32 v14, v15, s76
	s_delay_alu instid0(VALU_DEP_1) | instskip(NEXT) | instid1(VALU_DEP_1)
	v_sub_nc_u32_e32 v14, v2, v14
	v_subrev_nc_u32_e32 v21, s76, v14
	v_cmp_le_u32_e32 vcc_lo, s76, v14
	s_delay_alu instid0(VALU_DEP_2) | instskip(NEXT) | instid1(VALU_DEP_1)
	v_cndmask_b32_e32 v2, v14, v21, vcc_lo
	v_subrev_nc_u32_e32 v22, s76, v2
	v_cmp_le_u32_e32 vcc_lo, s76, v2
	s_delay_alu instid0(VALU_DEP_2) | instskip(NEXT) | instid1(VALU_DEP_1)
	v_cndmask_b32_e32 v2, v2, v22, vcc_lo
	v_xor_b32_e32 v2, v2, v20
	s_delay_alu instid0(VALU_DEP_1) | instskip(NEXT) | instid1(VALU_DEP_1)
	v_sub_nc_u32_e32 v2, v2, v20
	v_cmp_ne_u32_e32 vcc_lo, 0, v2
	s_and_b32 s81, vcc_lo, exec_lo
	s_and_not1_saveexec_b32 s82, s82
	s_cbranch_execz .LBB72_27
.LBB72_32:                              ;   in Loop: Header=BB72_25 Depth=5
	v_mul_u64_e32 v[14:15], s[14:15], v[2:3]
	s_or_b32 s81, s81, exec_lo
	s_delay_alu instid0(VALU_DEP_1) | instskip(NEXT) | instid1(VALU_DEP_1)
	v_mul_lo_u32 v14, v15, s76
	v_sub_nc_u32_e32 v14, v2, v14
	s_delay_alu instid0(VALU_DEP_1)
	v_subrev_nc_u32_e32 v21, s76, v14
	s_or_b32 exec_lo, exec_lo, s82
	v_mov_b32_e32 v2, 1
	s_and_saveexec_b32 s82, s81
	s_cbranch_execnz .LBB72_28
	s_branch .LBB72_29
.LBB72_33:                              ;   in Loop: Header=BB72_3 Depth=1
	v_mov_b64_e32 v[4:5], 0
.LBB72_34:                              ;   in Loop: Header=BB72_3 Depth=1
	s_delay_alu instid0(VALU_DEP_3) | instskip(SKIP_2) | instid1(VALU_DEP_1)
	v_dual_ashrrev_i32 v9, 31, v8 :: v_dual_ashrrev_i32 v7, 31, v6
	s_and_b32 vcc_lo, exec_lo, s71
	s_mov_b32 s0, -1
	v_mad_nc_i64_i32 v[8:9], v1, s36, v[8:9]
	s_delay_alu instid0(VALU_DEP_1) | instskip(NEXT) | instid1(VALU_DEP_1)
	v_mad_nc_u64_u32 v[6:7], v8, s6, v[6:7]
	v_mad_u32 v1, v9, s6, v7
	s_delay_alu instid0(VALU_DEP_1) | instskip(NEXT) | instid1(VALU_DEP_1)
	v_mad_u32 v7, v8, s7, v1
	v_lshl_add_u64 v[6:7], v[6:7], 1, s[4:5]
	s_cbranch_vccz .LBB72_36
; %bb.35:                               ;   in Loop: Header=BB72_3 Depth=1
	global_load_u16 v1, v[6:7], off
	s_wait_loadcnt 0x0
	v_lshlrev_b32_e32 v1, 16, v1
	s_delay_alu instid0(VALU_DEP_1) | instskip(NEXT) | instid1(VALU_DEP_1)
	v_cvt_f64_f32_e32 v[8:9], v1
	v_mul_f64_e32 v[8:9], s[26:27], v[8:9]
	s_delay_alu instid0(VALU_DEP_1) | instskip(NEXT) | instid1(VALU_DEP_1)
	v_fmac_f64_e32 v[8:9], s[24:25], v[4:5]
	v_cvt_f32_f64_e32 v1, v[8:9]
	s_delay_alu instid0(VALU_DEP_1) | instskip(SKIP_2) | instid1(VALU_DEP_3)
	v_and_b32_e32 v2, 0x7f800000, v1
	v_and_b32_e32 v8, 0xffff, v1
	v_lshrrev_b32_e32 v1, 16, v1
	v_cmp_eq_u32_e32 vcc_lo, 0x7f800000, v2
	s_delay_alu instid0(VALU_DEP_3) | instskip(SKIP_1) | instid1(SALU_CYCLE_1)
	v_cmp_ne_u32_e64 s0, 0, v8
	s_and_b32 s0, vcc_lo, s0
	v_cndmask_b32_e64 v2, 0, 1, s0
	s_mov_b32 s0, 0
	s_delay_alu instid0(VALU_DEP_1)
	v_or_b32_e32 v1, v1, v2
	global_store_b16 v[6:7], v1, off
.LBB72_36:                              ;   in Loop: Header=BB72_3 Depth=1
	s_and_not1_b32 vcc_lo, exec_lo, s0
	s_cbranch_vccnz .LBB72_2
; %bb.37:                               ;   in Loop: Header=BB72_3 Depth=1
	s_wait_xcnt 0x0
	v_cvt_f32_f64_e32 v1, v[4:5]
	s_delay_alu instid0(VALU_DEP_1) | instskip(SKIP_2) | instid1(VALU_DEP_3)
	v_and_b32_e32 v2, 0x7f800000, v1
	v_and_b32_e32 v4, 0xffff, v1
	v_lshrrev_b32_e32 v1, 16, v1
	v_cmp_eq_u32_e32 vcc_lo, 0x7f800000, v2
	s_delay_alu instid0(VALU_DEP_3) | instskip(SKIP_1) | instid1(SALU_CYCLE_1)
	v_cmp_ne_u32_e64 s0, 0, v4
	s_and_b32 s0, vcc_lo, s0
	v_cndmask_b32_e64 v2, 0, 1, s0
	s_delay_alu instid0(VALU_DEP_1)
	v_or_b32_e32 v1, v1, v2
	global_store_b16 v[6:7], v1, off
	s_branch .LBB72_2
.LBB72_38:
	s_endpgm
	.section	.rodata,"a",@progbits
	.p2align	6, 0x0
	.amdhsa_kernel naive_conv_ab_packed_bwd_ncdhw_ushort_double_ushort
		.amdhsa_group_segment_fixed_size 0
		.amdhsa_private_segment_fixed_size 0
		.amdhsa_kernarg_size 528
		.amdhsa_user_sgpr_count 2
		.amdhsa_user_sgpr_dispatch_ptr 0
		.amdhsa_user_sgpr_queue_ptr 0
		.amdhsa_user_sgpr_kernarg_segment_ptr 1
		.amdhsa_user_sgpr_dispatch_id 0
		.amdhsa_user_sgpr_kernarg_preload_length 0
		.amdhsa_user_sgpr_kernarg_preload_offset 0
		.amdhsa_user_sgpr_private_segment_size 0
		.amdhsa_wavefront_size32 1
		.amdhsa_uses_dynamic_stack 0
		.amdhsa_enable_private_segment 0
		.amdhsa_system_sgpr_workgroup_id_x 1
		.amdhsa_system_sgpr_workgroup_id_y 0
		.amdhsa_system_sgpr_workgroup_id_z 0
		.amdhsa_system_sgpr_workgroup_info 0
		.amdhsa_system_vgpr_workitem_id 0
		.amdhsa_next_free_vgpr 23
		.amdhsa_next_free_sgpr 83
		.amdhsa_named_barrier_count 0
		.amdhsa_reserve_vcc 1
		.amdhsa_float_round_mode_32 0
		.amdhsa_float_round_mode_16_64 0
		.amdhsa_float_denorm_mode_32 3
		.amdhsa_float_denorm_mode_16_64 3
		.amdhsa_fp16_overflow 0
		.amdhsa_memory_ordered 1
		.amdhsa_forward_progress 1
		.amdhsa_inst_pref_size 24
		.amdhsa_round_robin_scheduling 0
		.amdhsa_exception_fp_ieee_invalid_op 0
		.amdhsa_exception_fp_denorm_src 0
		.amdhsa_exception_fp_ieee_div_zero 0
		.amdhsa_exception_fp_ieee_overflow 0
		.amdhsa_exception_fp_ieee_underflow 0
		.amdhsa_exception_fp_ieee_inexact 0
		.amdhsa_exception_int_div_zero 0
	.end_amdhsa_kernel
	.text
.Lfunc_end72:
	.size	naive_conv_ab_packed_bwd_ncdhw_ushort_double_ushort, .Lfunc_end72-naive_conv_ab_packed_bwd_ncdhw_ushort_double_ushort
                                        ; -- End function
	.set naive_conv_ab_packed_bwd_ncdhw_ushort_double_ushort.num_vgpr, 23
	.set naive_conv_ab_packed_bwd_ncdhw_ushort_double_ushort.num_agpr, 0
	.set naive_conv_ab_packed_bwd_ncdhw_ushort_double_ushort.numbered_sgpr, 83
	.set naive_conv_ab_packed_bwd_ncdhw_ushort_double_ushort.num_named_barrier, 0
	.set naive_conv_ab_packed_bwd_ncdhw_ushort_double_ushort.private_seg_size, 0
	.set naive_conv_ab_packed_bwd_ncdhw_ushort_double_ushort.uses_vcc, 1
	.set naive_conv_ab_packed_bwd_ncdhw_ushort_double_ushort.uses_flat_scratch, 0
	.set naive_conv_ab_packed_bwd_ncdhw_ushort_double_ushort.has_dyn_sized_stack, 0
	.set naive_conv_ab_packed_bwd_ncdhw_ushort_double_ushort.has_recursion, 0
	.set naive_conv_ab_packed_bwd_ncdhw_ushort_double_ushort.has_indirect_call, 0
	.section	.AMDGPU.csdata,"",@progbits
; Kernel info:
; codeLenInByte = 2952
; TotalNumSgprs: 85
; NumVgprs: 23
; ScratchSize: 0
; MemoryBound: 0
; FloatMode: 240
; IeeeMode: 1
; LDSByteSize: 0 bytes/workgroup (compile time only)
; SGPRBlocks: 0
; VGPRBlocks: 1
; NumSGPRsForWavesPerEU: 85
; NumVGPRsForWavesPerEU: 23
; NamedBarCnt: 0
; Occupancy: 16
; WaveLimiterHint : 1
; COMPUTE_PGM_RSRC2:SCRATCH_EN: 0
; COMPUTE_PGM_RSRC2:USER_SGPR: 2
; COMPUTE_PGM_RSRC2:TRAP_HANDLER: 0
; COMPUTE_PGM_RSRC2:TGID_X_EN: 1
; COMPUTE_PGM_RSRC2:TGID_Y_EN: 0
; COMPUTE_PGM_RSRC2:TGID_Z_EN: 0
; COMPUTE_PGM_RSRC2:TIDIG_COMP_CNT: 0
	.text
	.protected	naive_conv_ab_nonpacked_bwd_ncdhw_ushort_double_ushort ; -- Begin function naive_conv_ab_nonpacked_bwd_ncdhw_ushort_double_ushort
	.globl	naive_conv_ab_nonpacked_bwd_ncdhw_ushort_double_ushort
	.p2align	8
	.type	naive_conv_ab_nonpacked_bwd_ncdhw_ushort_double_ushort,@function
naive_conv_ab_nonpacked_bwd_ncdhw_ushort_double_ushort: ; @naive_conv_ab_nonpacked_bwd_ncdhw_ushort_double_ushort
; %bb.0:
	s_load_b512 s[4:19], s[0:1], 0xb8
	s_bfe_u32 s2, ttmp6, 0x4000c
	s_and_b32 s3, ttmp6, 15
	s_add_co_i32 s2, s2, 1
	s_getreg_b32 s20, hwreg(HW_REG_IB_STS2, 6, 4)
	s_mul_i32 s2, ttmp9, s2
	s_mov_b32 s25, exec_lo
	s_add_co_i32 s3, s3, s2
	s_cmp_eq_u32 s20, 0
	s_cselect_b32 s20, ttmp9, s3
	s_wait_kmcnt 0x0
	s_abs_i32 s3, s9
	s_mul_i32 s68, s6, s5
	s_cvt_f32_u32 s2, s3
	s_delay_alu instid0(SALU_CYCLE_3) | instskip(SKIP_1) | instid1(TRANS32_DEP_1)
	v_rcp_iflag_f32_e32 v1, s2
	v_nop
	v_readfirstlane_b32 s2, v1
	s_mul_f32 s2, s2, 0x4f7ffffe
	s_delay_alu instid0(SALU_CYCLE_3) | instskip(SKIP_1) | instid1(SALU_CYCLE_2)
	s_cvt_u32_f32 s21, s2
	s_sub_co_i32 s2, 0, s3
	s_mul_i32 s2, s2, s21
	s_delay_alu instid0(SALU_CYCLE_1) | instskip(SKIP_2) | instid1(SALU_CYCLE_1)
	s_mul_hi_u32 s22, s21, s2
	s_abs_i32 s2, s20
	s_add_co_i32 s21, s21, s22
	s_mul_hi_u32 s21, s2, s21
	s_delay_alu instid0(SALU_CYCLE_1) | instskip(SKIP_2) | instid1(SALU_CYCLE_1)
	s_mul_i32 s22, s21, s3
	s_add_co_i32 s23, s21, 1
	s_sub_co_i32 s22, s2, s22
	s_sub_co_i32 s24, s22, s3
	s_cmp_ge_u32 s22, s3
	s_cselect_b32 s21, s23, s21
	s_cselect_b32 s22, s24, s22
	s_add_co_i32 s23, s21, 1
	s_cmp_ge_u32 s22, s3
	s_mul_i32 s22, s9, s7
	s_cselect_b32 s23, s23, s21
	s_abs_i32 s21, s7
	s_abs_i32 s28, s22
	s_cvt_f32_u32 s3, s21
	s_cvt_f32_u32 s7, s28
	s_delay_alu instid0(SALU_CYCLE_2) | instskip(NEXT) | instid1(SALU_CYCLE_2)
	v_rcp_iflag_f32_e32 v1, s3
	v_rcp_iflag_f32_e32 v2, s7
	s_mul_i32 s7, s68, s4
	s_mov_b32 s3, 0
	s_delay_alu instid0(TRANS32_DEP_2) | instskip(NEXT) | instid1(TRANS32_DEP_1)
	v_readfirstlane_b32 s24, v1
	v_readfirstlane_b32 s4, v2
	v_cmpx_gt_i32_e64 s7, v0
	s_cbranch_execz .LBB73_38
; %bb.1:
	s_mul_f32 s24, s24, 0x4f7ffffe
	s_ashr_i32 s29, s20, 31
	s_ashr_i32 s25, s9, 31
	s_mul_f32 s4, s4, 0x4f7ffffe
	s_cvt_u32_f32 s26, s24
	s_xor_b32 s25, s29, s25
	s_sub_co_i32 s24, 0, s21
	s_xor_b32 s23, s23, s25
	s_mul_i32 s24, s24, s26
	s_cvt_u32_f32 s4, s4
	s_sub_co_i32 s23, s23, s25
	s_mul_hi_u32 s25, s26, s24
	s_sub_co_i32 s30, 0, s28
	s_abs_i32 s24, s23
	s_add_co_i32 s26, s26, s25
	s_mov_b32 s25, s3
	s_mov_b32 s27, s3
	s_mul_i32 s30, s30, s4
	s_mul_u64 s[26:27], s[24:25], s[26:27]
	s_mul_hi_u32 s25, s4, s30
	s_ashr_i32 s26, s22, 31
	s_add_co_i32 s22, s4, s25
	s_mul_i32 s4, s27, s21
	s_ashr_i32 s33, s23, 31
	s_mul_i32 s23, s23, s9
	s_sub_co_i32 s4, s24, s4
	s_sub_co_i32 s70, s20, s23
	;; [unrolled: 1-line block ×3, first 2 shown]
	s_cmp_ge_u32 s4, s21
	s_mov_b32 s23, s3
	s_cselect_b32 s4, s9, s4
	s_mul_u64 s[30:31], s[2:3], s[22:23]
	s_sub_co_i32 s9, s4, s21
	s_cmp_ge_u32 s4, s21
	s_load_b512 s[36:51], s[0:1], 0x28
	s_cselect_b32 s4, s9, s4
	s_load_b128 s[52:55], s[0:1], 0xa8
	s_xor_b32 s4, s4, s33
	s_load_b64 s[82:83], s[0:1], 0x20
	s_sub_co_i32 s34, s4, s33
	s_xor_b32 s33, s29, s26
	s_load_b256 s[20:27], s[0:1], 0x0
	s_mul_i32 s4, s31, s28
	v_mov_b32_e32 v3, 0
	s_sub_co_i32 s2, s2, s4
	s_add_co_i32 s4, s31, 1
	s_sub_co_i32 s9, s2, s28
	s_cmp_ge_u32 s2, s28
	s_load_b32 s84, s[0:1], 0x11c
	s_cselect_b32 s4, s4, s31
	s_cselect_b32 s2, s9, s2
	s_add_co_i32 s9, s4, 1
	s_cmp_ge_u32 s2, s28
	s_load_b128 s[28:31], s[0:1], 0xf8
	s_cselect_b32 s2, s9, s4
	s_load_b32 s9, s[0:1], 0x108
	s_xor_b32 s2, s2, s33
	s_ashr_i32 s35, s34, 31
	s_sub_co_i32 s72, s2, s33
	s_ashr_i32 s71, s70, 31
	s_ashr_i32 s73, s72, 31
	s_wait_kmcnt 0x0
	v_cmp_neq_f64_e64 s2, s[24:25], 1.0
	v_cmp_neq_f64_e64 s69, s[26:27], 0
	s_mul_u64 s[46:47], s[46:47], s[34:35]
	s_mul_u64 s[44:45], s[44:45], s[72:73]
	s_mul_u64 s[42:43], s[42:43], s[70:71]
	s_mul_u64 s[34:35], s[54:55], s[34:35]
	s_mul_u64 s[52:53], s[52:53], s[72:73]
	s_lshl_b64 s[46:47], s[46:47], 1
	s_lshl_b64 s[44:45], s[44:45], 1
	;; [unrolled: 1-line block ×5, first 2 shown]
	s_cmp_gt_i32 s8, 0
	s_load_b512 s[52:67], s[0:1], 0x68
	s_cselect_b32 s33, -1, 0
	s_cmp_gt_i32 s30, 0
	s_cselect_b32 s74, -1, 0
	s_cmp_gt_i32 s31, 0
	;; [unrolled: 2-line block ×3, first 2 shown]
	s_cselect_b32 s76, -1, 0
	s_abs_i32 s77, s6
	s_abs_i32 s78, s5
	s_cvt_f32_u32 s4, s77
	s_cvt_f32_u32 s79, s78
	s_abs_i32 s86, s15
	s_ashr_i32 s85, s68, 31
	v_rcp_iflag_f32_e32 v1, s4
	s_add_nc_u64 s[4:5], s[20:21], s[46:47]
	v_rcp_iflag_f32_e32 v2, s79
	s_add_nc_u64 s[20:21], s[82:83], s[34:35]
	s_wait_xcnt 0x0
	s_add_nc_u64 s[0:1], s[4:5], s[44:45]
	s_add_nc_u64 s[20:21], s[20:21], s[80:81]
	s_abs_i32 s80, s68
	v_readfirstlane_b32 s44, v1
	s_or_b32 s79, s2, s69
	s_cvt_f32_u32 s2, s80
	s_add_nc_u64 s[4:5], s[0:1], s[42:43]
	v_readfirstlane_b32 s1, v2
	s_mul_f32 s0, s44, 0x4f7ffffe
	v_rcp_iflag_f32_e32 v1, s2
	s_abs_i32 s83, s13
	s_sub_co_i32 s34, 0, s77
	s_cvt_u32_f32 s0, s0
	s_mul_f32 s1, s1, 0x4f7ffffe
	s_cvt_f32_u32 s42, s83
	s_and_b32 s81, s84, 0xffff
	v_nop
	v_readfirstlane_b32 s35, v1
	s_mul_i32 s34, s34, s0
	s_cvt_u32_f32 s1, s1
	s_mul_hi_u32 s2, s0, s34
	s_sub_co_i32 s34, 0, s78
	v_rcp_iflag_f32_e32 v1, s42
	s_mul_i32 s43, s34, s1
	s_add_co_i32 s34, s0, s2
	s_mul_f32 s2, s35, 0x4f7ffffe
	s_mul_hi_u32 s0, s1, s43
	s_abs_i32 s84, s14
	s_add_co_i32 s42, s1, s0
	s_cvt_u32_f32 s0, s2
	s_cvt_f32_u32 s2, s84
	v_nop
	v_readfirstlane_b32 s1, v1
	s_sub_co_i32 s44, 0, s80
	s_cvt_f32_u32 s45, s86
	v_rcp_iflag_f32_e32 v1, s2
	s_mul_i32 s44, s44, s0
	s_mul_f32 s1, s1, 0x4f7ffffe
	s_mul_hi_u32 s2, s0, s44
	s_ashr_i32 s87, s14, 31
	s_add_co_i32 s44, s0, s2
	s_cvt_u32_f32 s0, s1
	v_nop
	v_readfirstlane_b32 s1, v1
	v_rcp_iflag_f32_e32 v1, s45
	s_sub_co_i32 s2, 0, s83
	s_ashr_i32 s88, s15, 31
	s_mul_i32 s2, s2, s0
	s_mul_f32 s1, s1, 0x4f7ffffe
	s_mul_hi_u32 s2, s0, s2
	s_wait_kmcnt 0x0
	s_mul_u64 s[14:15], s[58:59], s[72:73]
	v_nop
	v_readfirstlane_b32 s68, v1
	s_add_co_i32 s46, s0, s2
	s_cvt_u32_f32 s0, s1
	s_sub_co_i32 s1, 0, s84
	s_ashr_i32 s82, s6, 31
	s_mul_f32 s2, s68, 0x4f7ffffe
	s_mul_i32 s1, s1, s0
	s_mov_b32 s35, s3
	s_mul_hi_u32 s1, s0, s1
	s_cvt_u32_f32 s2, s2
	s_add_co_i32 s68, s0, s1
	s_sub_co_i32 s0, 0, s86
	s_mov_b32 s43, s3
	s_mul_i32 s0, s0, s2
	s_mov_b32 s45, s3
	s_mul_hi_u32 s89, s2, s0
	s_mul_u64 s[0:1], s[54:55], s[70:71]
	s_lshl_b64 s[54:55], s[14:15], 1
	s_lshl_b64 s[0:1], s[0:1], 1
	s_ashr_i32 s13, s13, 31
	s_add_nc_u64 s[0:1], s[0:1], s[54:55]
	s_mov_b32 s47, s3
	s_mov_b32 s69, s3
	s_add_co_i32 s14, s2, s89
	s_mov_b32 s15, s3
	s_add_nc_u64 s[22:23], s[22:23], s[0:1]
	s_lshl_b64 s[54:55], s[56:57], 1
	s_lshl_b64 s[52:53], s[52:53], 1
	s_mov_b32 s89, 0
	s_lshl_b64 s[50:51], s[50:51], 1
	s_lshl_b64 s[48:49], s[48:49], 1
	s_branch .LBB73_3
.LBB73_2:                               ;   in Loop: Header=BB73_3 Depth=1
	v_add_nc_u32_e32 v0, s81, v0
	s_delay_alu instid0(VALU_DEP_1)
	v_cmp_le_i32_e32 vcc_lo, s7, v0
	s_or_b32 s89, vcc_lo, s89
	s_wait_xcnt 0x0
	s_and_not1_b32 exec_lo, exec_lo, s89
	s_cbranch_execz .LBB73_38
.LBB73_3:                               ; =>This Loop Header: Depth=1
                                        ;     Child Loop BB73_6 Depth 2
                                        ;       Child Loop BB73_9 Depth 3
                                        ;         Child Loop BB73_18 Depth 4
                                        ;           Child Loop BB73_25 Depth 5
	v_dual_sub_nc_u32 v1, 0, v0 :: v_dual_ashrrev_i32 v10, 31, v0
	s_delay_alu instid0(VALU_DEP_1) | instskip(NEXT) | instid1(VALU_DEP_1)
	v_max_i32_e32 v2, v0, v1
	v_mul_u64_e32 v[4:5], s[34:35], v[2:3]
	s_delay_alu instid0(VALU_DEP_1) | instskip(SKIP_1) | instid1(VALU_DEP_2)
	v_mul_lo_u32 v1, v5, s77
	v_add_nc_u32_e32 v4, 1, v5
	v_sub_nc_u32_e32 v1, v2, v1
	s_delay_alu instid0(VALU_DEP_1) | instskip(SKIP_1) | instid1(VALU_DEP_4)
	v_subrev_nc_u32_e32 v6, s77, v1
	v_cmp_le_u32_e32 vcc_lo, s77, v1
	v_cndmask_b32_e32 v4, v5, v4, vcc_lo
	s_delay_alu instid0(VALU_DEP_3) | instskip(SKIP_1) | instid1(VALU_DEP_3)
	v_cndmask_b32_e32 v1, v1, v6, vcc_lo
	v_mul_u64_e32 v[8:9], s[44:45], v[2:3]
	v_add_nc_u32_e32 v5, 1, v4
	s_delay_alu instid0(VALU_DEP_3) | instskip(NEXT) | instid1(VALU_DEP_2)
	v_cmp_le_u32_e32 vcc_lo, s77, v1
	v_dual_cndmask_b32 v1, v4, v5, vcc_lo :: v_dual_bitop2_b32 v6, s82, v10 bitop3:0x14
	s_delay_alu instid0(VALU_DEP_1) | instskip(NEXT) | instid1(VALU_DEP_1)
	v_dual_mov_b32 v5, v3 :: v_dual_bitop2_b32 v1, v1, v6 bitop3:0x14
	v_sub_nc_u32_e32 v1, v1, v6
	s_delay_alu instid0(VALU_DEP_1) | instskip(NEXT) | instid1(VALU_DEP_1)
	v_sub_nc_u32_e32 v4, 0, v1
	v_max_i32_e32 v4, v1, v4
	s_delay_alu instid0(VALU_DEP_1) | instskip(SKIP_1) | instid1(VALU_DEP_1)
	v_mul_u64_e32 v[6:7], s[42:43], v[4:5]
	v_mul_lo_u32 v6, v9, s80
	v_dual_sub_nc_u32 v2, v2, v6 :: v_dual_add_nc_u32 v6, 1, v9
	s_delay_alu instid0(VALU_DEP_1) | instskip(NEXT) | instid1(VALU_DEP_4)
	v_cmp_le_u32_e32 vcc_lo, s80, v2
	v_mul_lo_u32 v5, v7, s78
	v_subrev_nc_u32_e32 v7, s80, v2
	s_delay_alu instid0(VALU_DEP_1) | instskip(NEXT) | instid1(VALU_DEP_3)
	v_dual_cndmask_b32 v2, v2, v7, vcc_lo :: v_dual_bitop2_b32 v8, s85, v10 bitop3:0x14
	v_sub_nc_u32_e32 v4, v4, v5
	s_delay_alu instid0(VALU_DEP_1) | instskip(SKIP_1) | instid1(VALU_DEP_1)
	v_subrev_nc_u32_e32 v5, s78, v4
	v_cmp_le_u32_e64 s0, s78, v4
	v_dual_cndmask_b32 v4, v4, v5, s0 :: v_dual_cndmask_b32 v5, v9, v6, vcc_lo
	v_mul_lo_u32 v9, v1, s6
	s_delay_alu instid0(VALU_DEP_2) | instskip(SKIP_1) | instid1(VALU_DEP_2)
	v_subrev_nc_u32_e32 v6, s78, v4
	v_cmp_le_u32_e32 vcc_lo, s78, v4
	v_dual_cndmask_b32 v4, v4, v6 :: v_dual_add_nc_u32 v7, 1, v5
	v_cmp_le_u32_e32 vcc_lo, s80, v2
	v_ashrrev_i32_e32 v1, 31, v1
	s_delay_alu instid0(VALU_DEP_3) | instskip(SKIP_1) | instid1(VALU_DEP_1)
	v_dual_sub_nc_u32 v6, v0, v9 :: v_dual_cndmask_b32 v2, v5, v7, vcc_lo
	s_and_not1_b32 vcc_lo, exec_lo, s33
	v_xor_b32_e32 v2, v2, v8
	s_delay_alu instid0(VALU_DEP_3) | instskip(NEXT) | instid1(VALU_DEP_1)
	v_xor_b32_e32 v4, v4, v1
	v_dual_sub_nc_u32 v14, v4, v1 :: v_dual_sub_nc_u32 v1, v2, v8
	s_cbranch_vccnz .LBB73_33
; %bb.4:                                ;   in Loop: Header=BB73_3 Depth=1
	v_mov_b64_e32 v[4:5], 0
	s_delay_alu instid0(VALU_DEP_2)
	v_dual_add_nc_u32 v7, s19, v1 :: v_dual_add_nc_u32 v15, s28, v14
	v_add_nc_u32_e32 v16, s29, v6
	s_mov_b32 s2, 0
	s_mov_b64 s[0:1], s[22:23]
	s_branch .LBB73_6
.LBB73_5:                               ;   in Loop: Header=BB73_6 Depth=2
	s_add_co_i32 s2, s2, 1
	s_add_nc_u64 s[0:1], s[0:1], s[54:55]
	s_cmp_eq_u32 s2, s8
	s_cbranch_scc1 .LBB73_34
.LBB73_6:                               ;   Parent Loop BB73_3 Depth=1
                                        ; =>  This Loop Header: Depth=2
                                        ;       Child Loop BB73_9 Depth 3
                                        ;         Child Loop BB73_18 Depth 4
                                        ;           Child Loop BB73_25 Depth 5
	s_and_not1_b32 vcc_lo, exec_lo, s74
	s_cbranch_vccnz .LBB73_5
; %bb.7:                                ;   in Loop: Header=BB73_6 Depth=2
	s_mul_u64 s[56:57], s[66:67], s[2:3]
	s_mov_b32 s90, 0
	s_lshl_b64 s[56:57], s[56:57], 1
	s_mov_b64 s[58:59], s[0:1]
	s_add_nc_u64 s[56:57], s[20:21], s[56:57]
	s_branch .LBB73_9
.LBB73_8:                               ;   in Loop: Header=BB73_9 Depth=3
	s_add_co_i32 s90, s90, 1
	s_add_nc_u64 s[58:59], s[58:59], s[52:53]
	s_cmp_eq_u32 s90, s30
	s_cbranch_scc1 .LBB73_5
.LBB73_9:                               ;   Parent Loop BB73_3 Depth=1
                                        ;     Parent Loop BB73_6 Depth=2
                                        ; =>    This Loop Header: Depth=3
                                        ;         Child Loop BB73_18 Depth 4
                                        ;           Child Loop BB73_25 Depth 5
	s_mul_i32 s70, s16, s90
	s_mov_b32 s71, exec_lo
	v_subrev_nc_u32_e32 v12, s70, v7
	s_mov_b32 s70, 0
                                        ; implicit-def: $vgpr9
                                        ; implicit-def: $vgpr8
                                        ; implicit-def: $vgpr11
	s_delay_alu instid0(VALU_DEP_1) | instskip(NEXT) | instid1(VALU_DEP_1)
	v_dual_sub_nc_u32 v2, 0, v12 :: v_dual_ashrrev_i32 v10, 31, v12
	v_max_i32_e32 v2, v12, v2
	v_cmpx_lt_i32_e32 -1, v12
	s_xor_b32 s71, exec_lo, s71
	s_cbranch_execnz .LBB73_13
; %bb.10:                               ;   in Loop: Header=BB73_9 Depth=3
	s_and_not1_saveexec_b32 s71, s71
	s_cbranch_execnz .LBB73_14
.LBB73_11:                              ;   in Loop: Header=BB73_9 Depth=3
	s_or_b32 exec_lo, exec_lo, s71
	v_mov_b32_e32 v2, 1
	s_and_saveexec_b32 s71, s70
	s_cbranch_execnz .LBB73_15
.LBB73_12:                              ;   in Loop: Header=BB73_9 Depth=3
	s_or_b32 exec_lo, exec_lo, s71
	s_delay_alu instid0(SALU_CYCLE_1)
	s_and_not1_b32 vcc_lo, exec_lo, s75
	s_cbranch_vccz .LBB73_16
	s_branch .LBB73_8
.LBB73_13:                              ;   in Loop: Header=BB73_9 Depth=3
	s_delay_alu instid0(VALU_DEP_2) | instskip(SKIP_1) | instid1(VALU_DEP_2)
	v_mul_u64_e32 v[8:9], s[46:47], v[2:3]
	v_ashrrev_i32_e32 v10, 31, v12
	v_mul_lo_u32 v8, v9, s83
	s_delay_alu instid0(VALU_DEP_1) | instskip(NEXT) | instid1(VALU_DEP_1)
	v_sub_nc_u32_e32 v8, v2, v8
	v_subrev_nc_u32_e32 v11, s83, v8
	v_cmp_le_u32_e32 vcc_lo, s83, v8
	s_delay_alu instid0(VALU_DEP_2) | instskip(NEXT) | instid1(VALU_DEP_1)
	v_cndmask_b32_e32 v2, v8, v11, vcc_lo
	v_subrev_nc_u32_e32 v13, s83, v2
	v_cmp_le_u32_e32 vcc_lo, s83, v2
	s_delay_alu instid0(VALU_DEP_2) | instskip(NEXT) | instid1(VALU_DEP_1)
	v_cndmask_b32_e32 v2, v2, v13, vcc_lo
	v_xor_b32_e32 v2, v2, v10
	s_delay_alu instid0(VALU_DEP_1) | instskip(NEXT) | instid1(VALU_DEP_1)
	v_sub_nc_u32_e32 v2, v2, v10
	v_cmp_ne_u32_e32 vcc_lo, 0, v2
	s_and_b32 s70, vcc_lo, exec_lo
	s_and_not1_saveexec_b32 s71, s71
	s_cbranch_execz .LBB73_11
.LBB73_14:                              ;   in Loop: Header=BB73_9 Depth=3
	v_mul_u64_e32 v[8:9], s[46:47], v[2:3]
	s_or_b32 s70, s70, exec_lo
	s_delay_alu instid0(VALU_DEP_1) | instskip(NEXT) | instid1(VALU_DEP_1)
	v_mul_lo_u32 v8, v9, s83
	v_sub_nc_u32_e32 v8, v2, v8
	s_delay_alu instid0(VALU_DEP_1)
	v_subrev_nc_u32_e32 v11, s83, v8
	s_or_b32 exec_lo, exec_lo, s71
	v_mov_b32_e32 v2, 1
	s_and_saveexec_b32 s71, s70
	s_cbranch_execz .LBB73_12
.LBB73_15:                              ;   in Loop: Header=BB73_9 Depth=3
	v_mov_b32_e32 v2, 0
	s_or_b32 exec_lo, exec_lo, s71
	s_delay_alu instid0(SALU_CYCLE_1)
	s_and_not1_b32 vcc_lo, exec_lo, s75
	s_cbranch_vccnz .LBB73_8
.LBB73_16:                              ;   in Loop: Header=BB73_9 Depth=3
	v_cmp_le_u32_e32 vcc_lo, s83, v8
	v_add_nc_u32_e32 v12, 1, v9
	s_mov_b32 s91, 0
	s_mov_b64 s[70:71], s[58:59]
	v_dual_cndmask_b32 v8, v8, v11, vcc_lo :: v_dual_bitop2_b32 v10, s13, v10 bitop3:0x14
	s_delay_alu instid0(VALU_DEP_2) | instskip(NEXT) | instid1(VALU_DEP_2)
	v_cndmask_b32_e32 v9, v9, v12, vcc_lo
	v_cmp_le_u32_e32 vcc_lo, s83, v8
	s_delay_alu instid0(VALU_DEP_2) | instskip(NEXT) | instid1(VALU_DEP_1)
	v_add_nc_u32_e32 v11, 1, v9
	v_cndmask_b32_e32 v8, v9, v11, vcc_lo
	s_delay_alu instid0(VALU_DEP_1) | instskip(NEXT) | instid1(VALU_DEP_1)
	v_xor_b32_e32 v8, v8, v10
	v_sub_nc_u32_e32 v8, v8, v10
	s_delay_alu instid0(VALU_DEP_1) | instskip(SKIP_1) | instid1(VALU_DEP_2)
	v_ashrrev_i32_e32 v9, 31, v8
	v_cmp_gt_i32_e32 vcc_lo, s10, v8
	v_mul_u64_e32 v[10:11], s[64:65], v[8:9]
	v_cndmask_b32_e32 v17, 0, v2, vcc_lo
	s_delay_alu instid0(VALU_DEP_2)
	v_lshl_add_u64 v[8:9], v[10:11], 1, s[56:57]
	s_branch .LBB73_18
.LBB73_17:                              ;   in Loop: Header=BB73_18 Depth=4
	s_add_co_i32 s91, s91, 1
	s_add_nc_u64 s[70:71], s[70:71], s[50:51]
	s_cmp_eq_u32 s91, s31
	s_cbranch_scc1 .LBB73_8
.LBB73_18:                              ;   Parent Loop BB73_3 Depth=1
                                        ;     Parent Loop BB73_6 Depth=2
                                        ;       Parent Loop BB73_9 Depth=3
                                        ; =>      This Loop Header: Depth=4
                                        ;           Child Loop BB73_25 Depth 5
	s_mul_i32 s72, s17, s91
	s_delay_alu instid0(SALU_CYCLE_1) | instskip(NEXT) | instid1(VALU_DEP_1)
	v_subrev_nc_u32_e32 v2, s72, v15
	v_dual_sub_nc_u32 v11, 0, v2 :: v_dual_ashrrev_i32 v10, 31, v2
	v_cmp_gt_i32_e64 s72, 0, v2
	v_cmp_lt_i32_e32 vcc_lo, -1, v2
	s_delay_alu instid0(VALU_DEP_3)
	v_max_i32_e32 v2, v2, v11
	s_and_saveexec_b32 s73, vcc_lo
	s_cbranch_execnz .LBB73_21
; %bb.19:                               ;   in Loop: Header=BB73_18 Depth=4
	s_or_b32 exec_lo, exec_lo, s73
	v_mov_b32_e32 v11, 1
	s_and_saveexec_b32 s73, s72
	s_cbranch_execnz .LBB73_22
.LBB73_20:                              ;   in Loop: Header=BB73_18 Depth=4
	s_or_b32 exec_lo, exec_lo, s73
	s_delay_alu instid0(SALU_CYCLE_1)
	s_and_not1_b32 vcc_lo, exec_lo, s76
	s_cbranch_vccz .LBB73_23
	s_branch .LBB73_17
.LBB73_21:                              ;   in Loop: Header=BB73_18 Depth=4
	s_delay_alu instid0(VALU_DEP_1) | instskip(SKIP_1) | instid1(VALU_DEP_1)
	v_mul_u64_e32 v[12:13], s[68:69], v[2:3]
	s_and_not1_b32 s72, s72, exec_lo
	v_mul_lo_u32 v11, v13, s84
	s_delay_alu instid0(VALU_DEP_1) | instskip(NEXT) | instid1(VALU_DEP_1)
	v_sub_nc_u32_e32 v11, v2, v11
	v_subrev_nc_u32_e32 v12, s84, v11
	v_cmp_le_u32_e32 vcc_lo, s84, v11
	s_delay_alu instid0(VALU_DEP_2) | instskip(NEXT) | instid1(VALU_DEP_1)
	v_cndmask_b32_e32 v11, v11, v12, vcc_lo
	v_subrev_nc_u32_e32 v12, s84, v11
	v_cmp_le_u32_e32 vcc_lo, s84, v11
	s_delay_alu instid0(VALU_DEP_2) | instskip(NEXT) | instid1(VALU_DEP_1)
	v_cndmask_b32_e32 v11, v11, v12, vcc_lo
	v_xor_b32_e32 v11, v11, v10
	s_delay_alu instid0(VALU_DEP_1) | instskip(NEXT) | instid1(VALU_DEP_1)
	v_sub_nc_u32_e32 v11, v11, v10
	v_cmp_ne_u32_e32 vcc_lo, 0, v11
	s_and_b32 s92, vcc_lo, exec_lo
	s_delay_alu instid0(SALU_CYCLE_1)
	s_or_b32 s72, s72, s92
	s_or_b32 exec_lo, exec_lo, s73
	v_mov_b32_e32 v11, 1
	s_and_saveexec_b32 s73, s72
	s_cbranch_execz .LBB73_20
.LBB73_22:                              ;   in Loop: Header=BB73_18 Depth=4
	v_mov_b32_e32 v11, 0
	s_or_b32 exec_lo, exec_lo, s73
	s_delay_alu instid0(SALU_CYCLE_1)
	s_and_not1_b32 vcc_lo, exec_lo, s76
	s_cbranch_vccnz .LBB73_17
.LBB73_23:                              ;   in Loop: Header=BB73_18 Depth=4
	v_mul_u64_e32 v[12:13], s[68:69], v[2:3]
	s_mov_b64 s[72:73], s[70:71]
	s_mov_b32 s92, s9
	v_dual_mov_b32 v19, v16 :: v_dual_bitop2_b32 v10, s87, v10 bitop3:0x14
	s_delay_alu instid0(VALU_DEP_2) | instskip(NEXT) | instid1(VALU_DEP_1)
	v_mul_lo_u32 v12, v13, s84
	v_dual_sub_nc_u32 v2, v2, v12 :: v_dual_add_nc_u32 v12, 1, v13
	s_delay_alu instid0(VALU_DEP_1) | instskip(SKIP_1) | instid1(VALU_DEP_2)
	v_subrev_nc_u32_e32 v18, s84, v2
	v_cmp_le_u32_e32 vcc_lo, s84, v2
	v_dual_cndmask_b32 v12, v13, v12, vcc_lo :: v_dual_cndmask_b32 v2, v2, v18, vcc_lo
	s_delay_alu instid0(VALU_DEP_1) | instskip(NEXT) | instid1(VALU_DEP_2)
	v_add_nc_u32_e32 v13, 1, v12
	v_cmp_le_u32_e32 vcc_lo, s84, v2
	s_delay_alu instid0(VALU_DEP_2) | instskip(NEXT) | instid1(VALU_DEP_1)
	v_cndmask_b32_e32 v2, v12, v13, vcc_lo
	v_xor_b32_e32 v2, v2, v10
	s_delay_alu instid0(VALU_DEP_1) | instskip(NEXT) | instid1(VALU_DEP_1)
	v_sub_nc_u32_e32 v12, v2, v10
	v_cmp_gt_i32_e32 vcc_lo, s11, v12
	v_dual_cndmask_b32 v2, 0, v11 :: v_dual_ashrrev_i32 v13, 31, v12
	s_delay_alu instid0(VALU_DEP_1) | instskip(NEXT) | instid1(VALU_DEP_2)
	v_and_b32_e32 v18, v2, v17
	v_mul_u64_e32 v[20:21], s[62:63], v[12:13]
	s_delay_alu instid0(VALU_DEP_1)
	v_lshl_add_u64 v[10:11], v[20:21], 1, v[8:9]
	s_branch .LBB73_25
.LBB73_24:                              ;   in Loop: Header=BB73_25 Depth=5
	s_or_b32 exec_lo, exec_lo, s93
	v_subrev_nc_u32_e32 v19, s18, v19
	s_add_co_i32 s92, s92, -1
	s_add_nc_u64 s[72:73], s[72:73], s[48:49]
	s_cmp_eq_u32 s92, 0
	s_cbranch_scc1 .LBB73_17
.LBB73_25:                              ;   Parent Loop BB73_3 Depth=1
                                        ;     Parent Loop BB73_6 Depth=2
                                        ;       Parent Loop BB73_9 Depth=3
                                        ;         Parent Loop BB73_18 Depth=4
                                        ; =>        This Inner Loop Header: Depth=5
	v_dual_sub_nc_u32 v2, 0, v19 :: v_dual_ashrrev_i32 v20, 31, v19
	s_mov_b32 s93, 0
	s_mov_b32 s94, exec_lo
                                        ; implicit-def: $vgpr13
                                        ; implicit-def: $vgpr12
                                        ; implicit-def: $vgpr21
	s_delay_alu instid0(VALU_DEP_1)
	v_max_i32_e32 v2, v19, v2
	v_cmpx_lt_i32_e32 -1, v19
	s_xor_b32 s94, exec_lo, s94
	s_cbranch_execnz .LBB73_31
; %bb.26:                               ;   in Loop: Header=BB73_25 Depth=5
	s_and_not1_saveexec_b32 s94, s94
	s_cbranch_execnz .LBB73_32
.LBB73_27:                              ;   in Loop: Header=BB73_25 Depth=5
	s_or_b32 exec_lo, exec_lo, s94
	v_mov_b32_e32 v2, 1
	s_and_saveexec_b32 s94, s93
.LBB73_28:                              ;   in Loop: Header=BB73_25 Depth=5
	v_mov_b32_e32 v2, 0
.LBB73_29:                              ;   in Loop: Header=BB73_25 Depth=5
	s_or_b32 exec_lo, exec_lo, s94
	v_add_nc_u32_e32 v22, 1, v13
	v_cmp_le_u32_e32 vcc_lo, s86, v12
	s_mov_b32 s93, exec_lo
	s_delay_alu instid0(VALU_DEP_2) | instskip(NEXT) | instid1(VALU_DEP_1)
	v_dual_cndmask_b32 v13, v13, v22 :: v_dual_cndmask_b32 v12, v12, v21
	v_add_nc_u32_e32 v21, 1, v13
	s_delay_alu instid0(VALU_DEP_2) | instskip(NEXT) | instid1(VALU_DEP_2)
	v_cmp_le_u32_e32 vcc_lo, s86, v12
	v_dual_cndmask_b32 v12, v13, v21, vcc_lo :: v_dual_bitop2_b32 v20, s88, v20 bitop3:0x14
	s_delay_alu instid0(VALU_DEP_1) | instskip(NEXT) | instid1(VALU_DEP_1)
	v_xor_b32_e32 v12, v12, v20
	v_sub_nc_u32_e32 v12, v12, v20
	s_delay_alu instid0(VALU_DEP_1) | instskip(SKIP_1) | instid1(VALU_DEP_1)
	v_cmp_gt_i32_e32 vcc_lo, s12, v12
	v_cndmask_b32_e32 v2, 0, v2, vcc_lo
	v_and_b32_e32 v2, v18, v2
	s_delay_alu instid0(VALU_DEP_1) | instskip(NEXT) | instid1(VALU_DEP_1)
	v_and_b32_e32 v2, 1, v2
	v_cmpx_eq_u32_e32 1, v2
	s_cbranch_execz .LBB73_24
; %bb.30:                               ;   in Loop: Header=BB73_25 Depth=5
	v_ashrrev_i32_e32 v13, 31, v12
	s_load_u16 s94, s[72:73], 0x0
	s_delay_alu instid0(VALU_DEP_1) | instskip(SKIP_2) | instid1(VALU_DEP_1)
	v_mul_u64_e32 v[12:13], s[60:61], v[12:13]
	s_wait_kmcnt 0x0
	s_lshl_b32 s94, s94, 16
	v_lshl_add_u64 v[12:13], v[12:13], 1, v[10:11]
	global_load_u16 v2, v[12:13], off
	s_wait_xcnt 0x0
	v_cvt_f64_f32_e32 v[12:13], s94
	s_wait_loadcnt 0x0
	v_lshlrev_b32_e32 v2, 16, v2
	s_delay_alu instid0(VALU_DEP_1) | instskip(NEXT) | instid1(VALU_DEP_1)
	v_cvt_f64_f32_e32 v[20:21], v2
	v_fmac_f64_e32 v[4:5], v[20:21], v[12:13]
	s_branch .LBB73_24
.LBB73_31:                              ;   in Loop: Header=BB73_25 Depth=5
	s_delay_alu instid0(VALU_DEP_2) | instskip(SKIP_1) | instid1(VALU_DEP_2)
	v_mul_u64_e32 v[12:13], s[14:15], v[2:3]
	v_ashrrev_i32_e32 v20, 31, v19
	v_mul_lo_u32 v12, v13, s86
	s_delay_alu instid0(VALU_DEP_1) | instskip(NEXT) | instid1(VALU_DEP_1)
	v_sub_nc_u32_e32 v12, v2, v12
	v_subrev_nc_u32_e32 v21, s86, v12
	v_cmp_le_u32_e32 vcc_lo, s86, v12
	s_delay_alu instid0(VALU_DEP_2) | instskip(NEXT) | instid1(VALU_DEP_1)
	v_cndmask_b32_e32 v2, v12, v21, vcc_lo
	v_subrev_nc_u32_e32 v22, s86, v2
	v_cmp_le_u32_e32 vcc_lo, s86, v2
	s_delay_alu instid0(VALU_DEP_2) | instskip(NEXT) | instid1(VALU_DEP_1)
	v_cndmask_b32_e32 v2, v2, v22, vcc_lo
	v_xor_b32_e32 v2, v2, v20
	s_delay_alu instid0(VALU_DEP_1) | instskip(NEXT) | instid1(VALU_DEP_1)
	v_sub_nc_u32_e32 v2, v2, v20
	v_cmp_ne_u32_e32 vcc_lo, 0, v2
	s_and_b32 s93, vcc_lo, exec_lo
	s_and_not1_saveexec_b32 s94, s94
	s_cbranch_execz .LBB73_27
.LBB73_32:                              ;   in Loop: Header=BB73_25 Depth=5
	v_mul_u64_e32 v[12:13], s[14:15], v[2:3]
	s_or_b32 s93, s93, exec_lo
	s_delay_alu instid0(VALU_DEP_1) | instskip(NEXT) | instid1(VALU_DEP_1)
	v_mul_lo_u32 v12, v13, s86
	v_sub_nc_u32_e32 v12, v2, v12
	s_delay_alu instid0(VALU_DEP_1)
	v_subrev_nc_u32_e32 v21, s86, v12
	s_or_b32 exec_lo, exec_lo, s94
	v_mov_b32_e32 v2, 1
	s_and_saveexec_b32 s94, s93
	s_cbranch_execnz .LBB73_28
	s_branch .LBB73_29
.LBB73_33:                              ;   in Loop: Header=BB73_3 Depth=1
	v_mov_b64_e32 v[4:5], 0
.LBB73_34:                              ;   in Loop: Header=BB73_3 Depth=1
	v_ashrrev_i32_e32 v7, 31, v6
	s_and_b32 vcc_lo, exec_lo, s79
	s_mov_b32 s0, -1
	s_delay_alu instid0(VALU_DEP_1) | instskip(NEXT) | instid1(VALU_DEP_1)
	v_mul_u64_e32 v[6:7], s[36:37], v[6:7]
	v_mad_nc_u64_u32 v[6:7], s38, v14, v[6:7]
	s_delay_alu instid0(VALU_DEP_1) | instskip(SKIP_1) | instid1(VALU_DEP_1)
	v_mad_u32 v2, s39, v14, v7
	v_ashrrev_i32_e32 v7, 31, v14
	v_mad_u32 v7, s38, v7, v2
	s_delay_alu instid0(VALU_DEP_1) | instskip(NEXT) | instid1(VALU_DEP_1)
	v_mad_nc_u64_u32 v[6:7], s40, v1, v[6:7]
	v_mad_u32 v2, s41, v1, v7
	v_ashrrev_i32_e32 v1, 31, v1
	s_delay_alu instid0(VALU_DEP_1) | instskip(NEXT) | instid1(VALU_DEP_1)
	v_mad_u32 v7, s40, v1, v2
	v_lshl_add_u64 v[6:7], v[6:7], 1, s[4:5]
	s_cbranch_vccz .LBB73_36
; %bb.35:                               ;   in Loop: Header=BB73_3 Depth=1
	global_load_u16 v1, v[6:7], off
	s_wait_loadcnt 0x0
	v_lshlrev_b32_e32 v1, 16, v1
	s_delay_alu instid0(VALU_DEP_1) | instskip(NEXT) | instid1(VALU_DEP_1)
	v_cvt_f64_f32_e32 v[8:9], v1
	v_mul_f64_e32 v[8:9], s[26:27], v[8:9]
	s_delay_alu instid0(VALU_DEP_1) | instskip(NEXT) | instid1(VALU_DEP_1)
	v_fmac_f64_e32 v[8:9], s[24:25], v[4:5]
	v_cvt_f32_f64_e32 v1, v[8:9]
	s_delay_alu instid0(VALU_DEP_1) | instskip(SKIP_2) | instid1(VALU_DEP_3)
	v_and_b32_e32 v2, 0x7f800000, v1
	v_and_b32_e32 v8, 0xffff, v1
	v_lshrrev_b32_e32 v1, 16, v1
	v_cmp_eq_u32_e32 vcc_lo, 0x7f800000, v2
	s_delay_alu instid0(VALU_DEP_3) | instskip(SKIP_1) | instid1(SALU_CYCLE_1)
	v_cmp_ne_u32_e64 s0, 0, v8
	s_and_b32 s0, vcc_lo, s0
	v_cndmask_b32_e64 v2, 0, 1, s0
	s_mov_b32 s0, 0
	s_delay_alu instid0(VALU_DEP_1)
	v_or_b32_e32 v1, v1, v2
	global_store_b16 v[6:7], v1, off
.LBB73_36:                              ;   in Loop: Header=BB73_3 Depth=1
	s_and_not1_b32 vcc_lo, exec_lo, s0
	s_cbranch_vccnz .LBB73_2
; %bb.37:                               ;   in Loop: Header=BB73_3 Depth=1
	s_wait_xcnt 0x0
	v_cvt_f32_f64_e32 v1, v[4:5]
	s_delay_alu instid0(VALU_DEP_1) | instskip(SKIP_2) | instid1(VALU_DEP_3)
	v_and_b32_e32 v2, 0x7f800000, v1
	v_and_b32_e32 v4, 0xffff, v1
	v_lshrrev_b32_e32 v1, 16, v1
	v_cmp_eq_u32_e32 vcc_lo, 0x7f800000, v2
	s_delay_alu instid0(VALU_DEP_3) | instskip(SKIP_1) | instid1(SALU_CYCLE_1)
	v_cmp_ne_u32_e64 s0, 0, v4
	s_and_b32 s0, vcc_lo, s0
	v_cndmask_b32_e64 v2, 0, 1, s0
	s_delay_alu instid0(VALU_DEP_1)
	v_or_b32_e32 v1, v1, v2
	global_store_b16 v[6:7], v1, off
	s_branch .LBB73_2
.LBB73_38:
	s_endpgm
	.section	.rodata,"a",@progbits
	.p2align	6, 0x0
	.amdhsa_kernel naive_conv_ab_nonpacked_bwd_ncdhw_ushort_double_ushort
		.amdhsa_group_segment_fixed_size 0
		.amdhsa_private_segment_fixed_size 0
		.amdhsa_kernarg_size 528
		.amdhsa_user_sgpr_count 2
		.amdhsa_user_sgpr_dispatch_ptr 0
		.amdhsa_user_sgpr_queue_ptr 0
		.amdhsa_user_sgpr_kernarg_segment_ptr 1
		.amdhsa_user_sgpr_dispatch_id 0
		.amdhsa_user_sgpr_kernarg_preload_length 0
		.amdhsa_user_sgpr_kernarg_preload_offset 0
		.amdhsa_user_sgpr_private_segment_size 0
		.amdhsa_wavefront_size32 1
		.amdhsa_uses_dynamic_stack 0
		.amdhsa_enable_private_segment 0
		.amdhsa_system_sgpr_workgroup_id_x 1
		.amdhsa_system_sgpr_workgroup_id_y 0
		.amdhsa_system_sgpr_workgroup_id_z 0
		.amdhsa_system_sgpr_workgroup_info 0
		.amdhsa_system_vgpr_workitem_id 0
		.amdhsa_next_free_vgpr 23
		.amdhsa_next_free_sgpr 95
		.amdhsa_named_barrier_count 0
		.amdhsa_reserve_vcc 1
		.amdhsa_float_round_mode_32 0
		.amdhsa_float_round_mode_16_64 0
		.amdhsa_float_denorm_mode_32 3
		.amdhsa_float_denorm_mode_16_64 3
		.amdhsa_fp16_overflow 0
		.amdhsa_memory_ordered 1
		.amdhsa_forward_progress 1
		.amdhsa_inst_pref_size 23
		.amdhsa_round_robin_scheduling 0
		.amdhsa_exception_fp_ieee_invalid_op 0
		.amdhsa_exception_fp_denorm_src 0
		.amdhsa_exception_fp_ieee_div_zero 0
		.amdhsa_exception_fp_ieee_overflow 0
		.amdhsa_exception_fp_ieee_underflow 0
		.amdhsa_exception_fp_ieee_inexact 0
		.amdhsa_exception_int_div_zero 0
	.end_amdhsa_kernel
	.text
.Lfunc_end73:
	.size	naive_conv_ab_nonpacked_bwd_ncdhw_ushort_double_ushort, .Lfunc_end73-naive_conv_ab_nonpacked_bwd_ncdhw_ushort_double_ushort
                                        ; -- End function
	.set naive_conv_ab_nonpacked_bwd_ncdhw_ushort_double_ushort.num_vgpr, 23
	.set naive_conv_ab_nonpacked_bwd_ncdhw_ushort_double_ushort.num_agpr, 0
	.set naive_conv_ab_nonpacked_bwd_ncdhw_ushort_double_ushort.numbered_sgpr, 95
	.set naive_conv_ab_nonpacked_bwd_ncdhw_ushort_double_ushort.num_named_barrier, 0
	.set naive_conv_ab_nonpacked_bwd_ncdhw_ushort_double_ushort.private_seg_size, 0
	.set naive_conv_ab_nonpacked_bwd_ncdhw_ushort_double_ushort.uses_vcc, 1
	.set naive_conv_ab_nonpacked_bwd_ncdhw_ushort_double_ushort.uses_flat_scratch, 0
	.set naive_conv_ab_nonpacked_bwd_ncdhw_ushort_double_ushort.has_dyn_sized_stack, 0
	.set naive_conv_ab_nonpacked_bwd_ncdhw_ushort_double_ushort.has_recursion, 0
	.set naive_conv_ab_nonpacked_bwd_ncdhw_ushort_double_ushort.has_indirect_call, 0
	.section	.AMDGPU.csdata,"",@progbits
; Kernel info:
; codeLenInByte = 2912
; TotalNumSgprs: 97
; NumVgprs: 23
; ScratchSize: 0
; MemoryBound: 0
; FloatMode: 240
; IeeeMode: 1
; LDSByteSize: 0 bytes/workgroup (compile time only)
; SGPRBlocks: 0
; VGPRBlocks: 1
; NumSGPRsForWavesPerEU: 97
; NumVGPRsForWavesPerEU: 23
; NamedBarCnt: 0
; Occupancy: 16
; WaveLimiterHint : 1
; COMPUTE_PGM_RSRC2:SCRATCH_EN: 0
; COMPUTE_PGM_RSRC2:USER_SGPR: 2
; COMPUTE_PGM_RSRC2:TRAP_HANDLER: 0
; COMPUTE_PGM_RSRC2:TGID_X_EN: 1
; COMPUTE_PGM_RSRC2:TGID_Y_EN: 0
; COMPUTE_PGM_RSRC2:TGID_Z_EN: 0
; COMPUTE_PGM_RSRC2:TIDIG_COMP_CNT: 0
	.text
	.protected	naive_conv_ab_packed_bwd_ndhwc_float_double_float ; -- Begin function naive_conv_ab_packed_bwd_ndhwc_float_double_float
	.globl	naive_conv_ab_packed_bwd_ndhwc_float_double_float
	.p2align	8
	.type	naive_conv_ab_packed_bwd_ndhwc_float_double_float,@function
naive_conv_ab_packed_bwd_ndhwc_float_double_float: ; @naive_conv_ab_packed_bwd_ndhwc_float_double_float
; %bb.0:
	s_load_b512 s[4:19], s[0:1], 0xb8
	s_bfe_u32 s2, ttmp6, 0x4000c
	s_and_b32 s3, ttmp6, 15
	s_add_co_i32 s2, s2, 1
	s_getreg_b32 s20, hwreg(HW_REG_IB_STS2, 6, 4)
	s_mul_i32 s2, ttmp9, s2
	s_mov_b32 s26, exec_lo
	s_add_co_i32 s3, s3, s2
	s_cmp_eq_u32 s20, 0
	s_cselect_b32 s20, ttmp9, s3
	s_wait_kmcnt 0x0
	s_abs_i32 s3, s4
	s_mul_i32 s48, s9, s6
	s_cvt_f32_u32 s2, s3
	s_mul_i32 s33, s48, s5
	s_delay_alu instid0(SALU_CYCLE_2) | instskip(SKIP_1) | instid1(TRANS32_DEP_1)
	v_rcp_iflag_f32_e32 v1, s2
	v_nop
	v_readfirstlane_b32 s2, v1
	s_mul_f32 s2, s2, 0x4f7ffffe
	s_delay_alu instid0(SALU_CYCLE_3) | instskip(SKIP_1) | instid1(SALU_CYCLE_2)
	s_cvt_u32_f32 s21, s2
	s_sub_co_i32 s2, 0, s3
	s_mul_i32 s2, s2, s21
	s_delay_alu instid0(SALU_CYCLE_1) | instskip(SKIP_2) | instid1(SALU_CYCLE_1)
	s_mul_hi_u32 s22, s21, s2
	s_abs_i32 s2, s20
	s_add_co_i32 s21, s21, s22
	s_mul_hi_u32 s21, s2, s21
	s_delay_alu instid0(SALU_CYCLE_1) | instskip(SKIP_2) | instid1(SALU_CYCLE_1)
	s_mul_i32 s22, s21, s3
	s_add_co_i32 s23, s21, 1
	s_sub_co_i32 s22, s2, s22
	s_sub_co_i32 s24, s22, s3
	s_cmp_ge_u32 s22, s3
	s_cselect_b32 s21, s23, s21
	s_cselect_b32 s22, s24, s22
	s_add_co_i32 s23, s21, 1
	s_cmp_ge_u32 s22, s3
	s_mul_i32 s22, s7, s4
	s_cselect_b32 s24, s23, s21
	s_abs_i32 s21, s7
	s_abs_i32 s7, s22
	s_cvt_f32_u32 s3, s21
	s_cvt_f32_u32 s23, s7
	s_delay_alu instid0(SALU_CYCLE_2) | instskip(NEXT) | instid1(SALU_CYCLE_2)
	v_rcp_iflag_f32_e32 v1, s3
	v_rcp_iflag_f32_e32 v2, s23
	s_mov_b32 s3, 0
	s_delay_alu instid0(TRANS32_DEP_2) | instskip(NEXT) | instid1(TRANS32_DEP_1)
	v_readfirstlane_b32 s25, v1
	v_readfirstlane_b32 s23, v2
	v_cmpx_gt_i32_e64 s33, v0
	s_cbranch_execz .LBB74_35
; %bb.1:
	s_ashr_i32 s30, s20, 31
	s_ashr_i32 s39, s4, 31
	s_mul_f32 s25, s25, 0x4f7ffffe
	s_xor_b32 s26, s30, s39
	s_mul_f32 s23, s23, 0x4f7ffffe
	s_xor_b32 s24, s24, s26
	s_cvt_u32_f32 s25, s25
	s_sub_co_i32 s29, s24, s26
	s_sub_co_i32 s24, 0, s21
	s_cvt_u32_f32 s23, s23
	s_mul_i32 s24, s24, s25
	s_mov_b32 s27, s3
	s_mul_hi_u32 s26, s25, s24
	s_abs_i32 s24, s29
	s_add_co_i32 s26, s25, s26
	s_mov_b32 s25, s3
	s_sub_co_i32 s28, 0, s7
	s_mul_u64 s[26:27], s[24:25], s[26:27]
	s_mul_i32 s28, s28, s23
	s_ashr_i32 s38, s22, 31
	s_mul_i32 s22, s27, s21
	s_ashr_i32 s31, s29, 31
	s_mul_hi_u32 s25, s23, s28
	s_mul_i32 s29, s29, s4
	s_sub_co_i32 s22, s24, s22
	s_add_co_i32 s28, s23, s25
	s_sub_co_i32 s40, s20, s29
	s_sub_co_i32 s20, s22, s21
	s_cmp_ge_u32 s22, s21
	s_load_b64 s[34:35], s[0:1], 0x108
	s_cselect_b32 s29, s20, s22
	s_mov_b32 s42, s5
	s_sub_co_i32 s36, s29, s21
	s_cmp_ge_u32 s29, s21
	s_load_b256 s[20:27], s[0:1], 0x0
	s_cselect_b32 s36, s36, s29
	s_mov_b32 s29, s3
	s_xor_b32 s41, s36, s31
	s_mul_u64 s[36:37], s[2:3], s[28:29]
	s_sub_co_i32 s54, s41, s31
	s_mul_i32 s28, s37, s7
	s_xor_b32 s41, s30, s38
	s_sub_co_i32 s2, s2, s28
	s_add_co_i32 s36, s37, 1
	s_sub_co_i32 s38, s2, s7
	s_load_b128 s[28:31], s[0:1], 0xf8
	s_cmp_ge_u32 s2, s7
	s_mov_b32 s44, s11
	s_cselect_b32 s36, s36, s37
	s_cselect_b32 s2, s38, s2
	s_add_co_i32 s37, s36, 1
	s_cmp_ge_u32 s2, s7
	s_mov_b32 s38, s4
	s_cselect_b32 s7, s37, s36
	s_wait_kmcnt 0x0
	s_mul_i32 s36, s35, s9
	s_xor_b32 s7, s7, s41
	s_ashr_i32 s55, s54, 31
	s_sub_co_i32 s52, s7, s41
	s_ashr_i32 s43, s5, 31
	s_ashr_i32 s7, s6, 31
	s_mul_u64 s[38:39], s[54:55], s[38:39]
	s_ashr_i32 s37, s36, 31
	s_ashr_i32 s41, s40, 31
	s_mul_u64 s[4:5], s[6:7], s[42:43]
	s_add_nc_u64 s[38:39], s[38:39], s[40:41]
	s_mul_u64 s[42:43], s[4:5], s[36:37]
	s_ashr_i32 s53, s52, 31
	s_ashr_i32 s5, s9, 31
	s_mov_b32 s4, s9
	s_mul_i32 s64, s35, s8
	s_mul_u64 s[38:39], s[42:43], s[38:39]
	s_mul_u64 s[42:43], s[52:53], s[4:5]
	s_lshl_b64 s[50:51], s[38:39], 2
	s_lshl_b64 s[58:59], s[42:43], 2
	s_ashr_i32 s57, s8, 31
	s_ashr_i32 s39, s30, 31
	;; [unrolled: 1-line block ×8, first 2 shown]
	s_cmp_lt_i32 s30, 1
	s_load_b32 s2, s[0:1], 0x11c
	s_cselect_b32 s65, -1, 0
	s_add_co_i32 s19, s40, s19
	s_cmp_gt_i32 s31, 0
	v_cmp_neq_f64_e64 s49, s[24:25], 1.0
	s_cselect_b32 s66, -1, 0
	s_cmp_gt_i32 s34, 0
	v_cmp_neq_f64_e64 s60, s[26:27], 0
	s_cselect_b32 s67, -1, 0
	s_cmp_gt_i32 s8, 0
	s_mov_b32 s42, s10
	s_cselect_b32 s68, -1, 0
	s_abs_i32 s9, s9
	s_abs_i32 s69, s6
	s_cvt_f32_u32 s38, s9
	s_abs_i32 s72, s48
	s_abs_i32 s73, s13
	s_sub_co_i32 s11, 0, s9
	v_rcp_iflag_f32_e32 v1, s38
	s_mov_b32 s38, s30
	s_cvt_f32_u32 s30, s69
	s_wait_kmcnt 0x0
	s_and_b32 s71, s2, 0xffff
	s_mov_b32 s40, s31
	s_sub_co_i32 s31, 0, s69
	s_abs_i32 s74, s14
	v_nop
	v_readfirstlane_b32 s46, v1
	v_rcp_iflag_f32_e32 v1, s30
	s_cvt_f32_u32 s30, s73
	s_ashr_i32 s75, s48, 31
	s_cvt_f32_u32 s48, s74
	s_mul_f32 s10, s46, 0x4f7ffffe
	s_mov_b32 s46, s12
	s_cvt_f32_u32 s12, s72
	v_rcp_iflag_f32_e32 v2, s30
	s_cvt_u32_f32 s2, s10
	v_readfirstlane_b32 s10, v1
	v_rcp_iflag_f32_e32 v1, s12
	s_abs_i32 s76, s15
	s_mul_i32 s11, s11, s2
	s_load_b64 s[0:1], s[0:1], 0x20
	s_mul_f32 s10, s10, 0x4f7ffffe
	s_mul_hi_u32 s11, s2, s11
	s_or_b32 s70, s49, s60
	s_sub_co_i32 s49, 0, s72
	s_cvt_u32_f32 s12, s10
	s_add_co_i32 s10, s2, s11
	v_nop
	v_readfirstlane_b32 s2, v1
	v_rcp_iflag_f32_e32 v1, s48
	s_mul_i32 s31, s31, s12
	s_cvt_f32_u32 s48, s76
	s_mul_hi_u32 s30, s12, s31
	s_mul_f32 s2, s2, 0x4f7ffffe
	s_add_co_i32 s30, s12, s30
	v_readfirstlane_b32 s12, v2
	v_rcp_iflag_f32_e32 v2, s48
	s_cvt_u32_f32 s2, s2
	s_add_nc_u64 s[20:21], s[20:21], s[50:51]
	v_readfirstlane_b32 s51, v1
	s_mul_f32 s12, s12, 0x4f7ffffe
	s_mul_i32 s49, s49, s2
	s_sub_co_i32 s50, 0, s73
	s_mul_hi_u32 s49, s2, s49
	s_cvt_u32_f32 s12, s12
	s_add_co_i32 s48, s2, s49
	s_mov_b32 s56, s8
	s_add_nc_u64 s[20:21], s[20:21], s[58:59]
	s_mul_i32 s50, s50, s12
	s_mul_u64 s[56:57], s[56:57], s[52:53]
	s_mul_hi_u32 s2, s12, s50
	s_mul_f32 s50, s51, 0x4f7ffffe
	v_readfirstlane_b32 s51, v2
	s_add_co_i32 s12, s12, s2
	s_lshl_b64 s[52:53], s[56:57], 2
	s_cvt_u32_f32 s2, s50
	s_mul_u64 s[58:59], s[34:35], s[4:5]
	s_mul_f32 s50, s51, 0x4f7ffffe
	s_sub_co_i32 s51, 0, s74
	s_ashr_i32 s78, s14, 31
	s_mul_i32 s51, s51, s2
	s_cvt_u32_f32 s14, s50
	s_wait_kmcnt 0x0
	s_add_nc_u64 s[52:53], s[0:1], s[52:53]
	s_mul_u64 s[0:1], s[58:59], s[40:41]
	s_mul_hi_u32 s50, s2, s51
	s_sub_co_i32 s51, 0, s76
	s_mul_u64 s[60:61], s[46:47], s[44:45]
	s_mul_u64 s[62:63], s[0:1], s[38:39]
	s_add_co_i32 s50, s2, s50
	s_mul_i32 s2, s51, s14
	s_mul_u64 s[60:61], s[60:61], s[42:43]
	s_mul_u64 s[56:57], s[56:57], s[62:63]
	v_mov_b32_e32 v3, 0
	s_mul_hi_u32 s2, s14, s2
	s_mul_u64 s[54:55], s[60:61], s[54:55]
	s_lshl_b64 s[56:57], s[56:57], 2
	s_mov_b32 s11, s3
	s_mov_b32 s31, s3
	;; [unrolled: 1-line block ×3, first 2 shown]
	s_ashr_i32 s77, s13, 31
	s_mov_b32 s13, s3
	s_mov_b32 s51, s3
	s_ashr_i32 s79, s15, 31
	s_add_co_i32 s14, s14, s2
	s_mov_b32 s15, s3
	s_lshl_b64 s[54:55], s[54:55], 2
	s_add_nc_u64 s[22:23], s[22:23], s[56:57]
	s_lshl_b64 s[56:57], s[0:1], 2
	s_lshl_b64 s[58:59], s[58:59], 2
	;; [unrolled: 1-line block ×4, first 2 shown]
	s_mov_b32 s35, 0
	s_branch .LBB74_3
.LBB74_2:                               ;   in Loop: Header=BB74_3 Depth=1
	s_delay_alu instid0(VALU_DEP_1) | instskip(SKIP_1) | instid1(VALU_DEP_1)
	v_cvt_f32_f64_e32 v1, v[6:7]
	v_add_nc_u32_e32 v0, s71, v0
	v_cmp_le_i32_e32 vcc_lo, s33, v0
	s_or_b32 s35, vcc_lo, s35
	global_store_b32 v[4:5], v1, off
	s_wait_xcnt 0x0
	s_and_not1_b32 exec_lo, exec_lo, s35
	s_cbranch_execz .LBB74_35
.LBB74_3:                               ; =>This Loop Header: Depth=1
                                        ;     Child Loop BB74_8 Depth 2
                                        ;       Child Loop BB74_17 Depth 3
                                        ;         Child Loop BB74_24 Depth 4
                                        ;           Child Loop BB74_31 Depth 5
	v_sub_nc_u32_e32 v1, 0, v0
	s_mov_b32 s39, -1
	s_delay_alu instid0(VALU_DEP_1) | instskip(NEXT) | instid1(VALU_DEP_1)
	v_max_i32_e32 v2, v0, v1
	v_mul_u64_e32 v[4:5], s[10:11], v[2:3]
	s_delay_alu instid0(VALU_DEP_1) | instskip(NEXT) | instid1(VALU_DEP_1)
	v_mul_lo_u32 v1, v5, s9
	v_sub_nc_u32_e32 v4, v2, v1
	v_add_nc_u32_e32 v1, 1, v5
	s_delay_alu instid0(VALU_DEP_2) | instskip(NEXT) | instid1(VALU_DEP_2)
	v_cmp_le_u32_e32 vcc_lo, s9, v4
	v_dual_cndmask_b32 v5, v5, v1, vcc_lo :: v_dual_ashrrev_i32 v1, 31, v0
	v_subrev_nc_u32_e32 v6, s9, v4
	s_delay_alu instid0(VALU_DEP_1) | instskip(NEXT) | instid1(VALU_DEP_1)
	v_dual_cndmask_b32 v4, v4, v6, vcc_lo :: v_dual_add_nc_u32 v6, 1, v5
	v_cmp_le_u32_e32 vcc_lo, s9, v4
	s_delay_alu instid0(VALU_DEP_2) | instskip(NEXT) | instid1(VALU_DEP_1)
	v_dual_cndmask_b32 v4, v5, v6, vcc_lo :: v_dual_bitop2_b32 v7, s5, v1 bitop3:0x14
	v_dual_mov_b32 v5, v3 :: v_dual_bitop2_b32 v4, v4, v7 bitop3:0x14
	s_delay_alu instid0(VALU_DEP_1) | instskip(SKIP_1) | instid1(VALU_DEP_1)
	v_sub_nc_u32_e32 v8, v4, v7
	v_mul_u64_e32 v[6:7], s[48:49], v[2:3]
	v_mul_lo_u32 v6, v7, s72
	s_delay_alu instid0(VALU_DEP_3) | instskip(NEXT) | instid1(VALU_DEP_1)
	v_sub_nc_u32_e32 v4, 0, v8
	v_max_i32_e32 v4, v8, v4
	s_delay_alu instid0(VALU_DEP_1) | instskip(NEXT) | instid1(VALU_DEP_1)
	v_mul_u64_e32 v[10:11], s[30:31], v[4:5]
	v_mul_lo_u32 v5, v11, s69
	s_delay_alu instid0(VALU_DEP_1) | instskip(SKIP_1) | instid1(VALU_DEP_2)
	v_dual_sub_nc_u32 v4, v4, v5 :: v_dual_sub_nc_u32 v5, v2, v6
	v_mul_lo_u32 v6, v8, s4
	v_subrev_nc_u32_e32 v2, s69, v4
	s_delay_alu instid0(VALU_DEP_3) | instskip(SKIP_2) | instid1(VALU_DEP_1)
	v_subrev_nc_u32_e32 v9, s72, v5
	v_cmp_le_u32_e32 vcc_lo, s69, v4
	v_cmp_le_u32_e64 s0, s72, v5
	v_dual_cndmask_b32 v2, v4, v2, vcc_lo :: v_dual_cndmask_b32 v5, v5, v9, s0
	v_sub_nc_u32_e32 v4, v0, v6
	s_and_not1_b32 vcc_lo, exec_lo, s65
	s_delay_alu instid0(VALU_DEP_2) | instskip(NEXT) | instid1(VALU_DEP_3)
	v_cmp_le_u32_e64 s2, s69, v2
	v_cmp_le_u32_e64 s1, s72, v5
	s_cbranch_vccnz .LBB74_5
; %bb.4:                                ;   in Loop: Header=BB74_3 Depth=1
	v_ashrrev_i32_e32 v5, 31, v4
	s_mov_b32 s39, 0
.LBB74_5:                               ;   in Loop: Header=BB74_3 Depth=1
	v_dual_add_nc_u32 v6, 1, v7 :: v_dual_ashrrev_i32 v8, 31, v8
	s_and_not1_b32 vcc_lo, exec_lo, s39
	s_delay_alu instid0(VALU_DEP_1) | instskip(SKIP_1) | instid1(VALU_DEP_1)
	v_dual_cndmask_b32 v6, v7, v6, s0 :: v_dual_bitop2_b32 v1, s75, v1 bitop3:0x14
	v_subrev_nc_u32_e32 v7, s69, v2
	v_dual_cndmask_b32 v2, v2, v7, s2 :: v_dual_add_nc_u32 v9, 1, v6
	s_delay_alu instid0(VALU_DEP_1) | instskip(NEXT) | instid1(VALU_DEP_1)
	v_cndmask_b32_e64 v6, v6, v9, s1
	v_xor_b32_e32 v9, v6, v1
	s_delay_alu instid0(VALU_DEP_3) | instskip(SKIP_1) | instid1(VALU_DEP_2)
	v_xor_b32_e32 v2, v2, v8
	v_mov_b64_e32 v[6:7], 0
	v_dual_sub_nc_u32 v1, v9, v1 :: v_dual_sub_nc_u32 v8, v2, v8
	s_cbranch_vccnz .LBB74_33
; %bb.6:                                ;   in Loop: Header=BB74_3 Depth=1
	s_delay_alu instid0(VALU_DEP_1) | instskip(SKIP_1) | instid1(VALU_DEP_3)
	v_dual_ashrrev_i32 v5, 31, v4 :: v_dual_add_nc_u32 v9, s28, v1
	v_mov_b64_e32 v[6:7], 0
	v_add_nc_u32_e32 v22, s29, v8
	s_mov_b32 s39, 0
	s_delay_alu instid0(VALU_DEP_3)
	v_lshl_add_u64 v[10:11], v[4:5], 2, s[22:23]
	s_branch .LBB74_8
.LBB74_7:                               ;   in Loop: Header=BB74_8 Depth=2
	v_add_nc_u64_e32 v[10:11], s[56:57], v[10:11]
	s_add_co_i32 s39, s39, 1
	s_delay_alu instid0(SALU_CYCLE_1)
	s_cmp_eq_u32 s39, s38
	s_cbranch_scc1 .LBB74_33
.LBB74_8:                               ;   Parent Loop BB74_3 Depth=1
                                        ; =>  This Loop Header: Depth=2
                                        ;       Child Loop BB74_17 Depth 3
                                        ;         Child Loop BB74_24 Depth 4
                                        ;           Child Loop BB74_31 Depth 5
	s_mul_i32 s0, s16, s39
	s_mov_b32 s81, -1
	s_sub_co_i32 s43, s19, s0
	s_mov_b32 s80, 0
	s_cmp_gt_i32 s43, -1
                                        ; implicit-def: $sgpr2
                                        ; implicit-def: $sgpr1
                                        ; implicit-def: $sgpr0
                                        ; implicit-def: $sgpr41
	s_cbranch_scc1 .LBB74_12
; %bb.9:                                ;   in Loop: Header=BB74_8 Depth=2
	s_and_not1_b32 vcc_lo, exec_lo, s81
	s_cbranch_vccz .LBB74_13
.LBB74_10:                              ;   in Loop: Header=BB74_8 Depth=2
	s_and_not1_b32 vcc_lo, exec_lo, s80
	s_mov_b32 s43, 1
	s_cbranch_vccz .LBB74_14
; %bb.11:                               ;   in Loop: Header=BB74_8 Depth=2
	s_and_not1_b32 vcc_lo, exec_lo, s66
	s_cbranch_vccz .LBB74_15
	s_branch .LBB74_7
.LBB74_12:                              ;   in Loop: Header=BB74_8 Depth=2
	s_abs_i32 s2, s43
	s_delay_alu instid0(SALU_CYCLE_1) | instskip(NEXT) | instid1(SALU_CYCLE_1)
	s_mul_u64 s[0:1], s[2:3], s[12:13]
	s_mul_i32 s0, s1, s73
	s_delay_alu instid0(SALU_CYCLE_1) | instskip(SKIP_4) | instid1(SALU_CYCLE_1)
	s_sub_co_i32 s0, s2, s0
	s_ashr_i32 s2, s43, 31
	s_sub_co_i32 s41, s0, s73
	s_cmp_ge_u32 s0, s73
	s_cselect_b32 s80, s41, s0
	s_sub_co_i32 s81, s80, s73
	s_cmp_ge_u32 s80, s73
	s_cselect_b32 s80, s81, s80
	s_delay_alu instid0(SALU_CYCLE_1) | instskip(NEXT) | instid1(SALU_CYCLE_1)
	s_xor_b32 s80, s80, s2
	s_sub_co_i32 s80, s80, s2
	s_delay_alu instid0(SALU_CYCLE_1)
	s_cmp_lg_u32 s80, 0
	s_cselect_b32 s80, -1, 0
	s_cbranch_execnz .LBB74_10
.LBB74_13:                              ;   in Loop: Header=BB74_8 Depth=2
	s_abs_i32 s2, s43
	s_delay_alu instid0(SALU_CYCLE_1) | instskip(NEXT) | instid1(SALU_CYCLE_1)
	s_mul_u64 s[0:1], s[2:3], s[12:13]
	s_mul_i32 s0, s1, s73
	s_delay_alu instid0(SALU_CYCLE_1)
	s_sub_co_i32 s0, s2, s0
	s_ashr_i32 s2, s43, 31
	s_sub_co_i32 s41, s0, s73
	s_mov_b32 s43, 1
.LBB74_14:                              ;   in Loop: Header=BB74_8 Depth=2
	s_mov_b32 s43, 0
	s_and_not1_b32 vcc_lo, exec_lo, s66
	s_cbranch_vccnz .LBB74_7
.LBB74_15:                              ;   in Loop: Header=BB74_8 Depth=2
	s_xor_b32 s2, s2, s77
	s_add_co_i32 s80, s1, 1
	s_cmp_ge_u32 s0, s73
	v_mov_b64_e32 v[12:13], v[10:11]
	s_cselect_b32 s1, s80, s1
	s_cselect_b32 s0, s41, s0
	s_add_co_i32 s41, s1, 1
	s_cmp_ge_u32 s0, s73
	s_cselect_b32 s0, s41, s1
	s_mov_b32 s41, 0
	s_xor_b32 s0, s0, s2
	s_delay_alu instid0(SALU_CYCLE_1) | instskip(NEXT) | instid1(SALU_CYCLE_1)
	s_sub_co_i32 s0, s0, s2
	s_cmp_lt_i32 s0, s42
	s_cselect_b32 s2, s43, 0
	s_ashr_i32 s1, s0, 31
	s_delay_alu instid0(SALU_CYCLE_1)
	s_mul_u64 s[0:1], s[0:1], s[44:45]
	s_branch .LBB74_17
.LBB74_16:                              ;   in Loop: Header=BB74_17 Depth=3
	v_add_nc_u64_e32 v[12:13], s[58:59], v[12:13]
	s_add_co_i32 s41, s41, 1
	s_delay_alu instid0(SALU_CYCLE_1)
	s_cmp_eq_u32 s41, s40
	s_cbranch_scc1 .LBB74_7
.LBB74_17:                              ;   Parent Loop BB74_3 Depth=1
                                        ;     Parent Loop BB74_8 Depth=2
                                        ; =>    This Loop Header: Depth=3
                                        ;         Child Loop BB74_24 Depth 4
                                        ;           Child Loop BB74_31 Depth 5
	s_mul_i32 s43, s17, s41
	s_mov_b32 s80, exec_lo
	v_subrev_nc_u32_e32 v15, s43, v9
	s_delay_alu instid0(VALU_DEP_1)
	v_cmp_gt_i32_e64 s43, 0, v15
	v_dual_ashrrev_i32 v14, 31, v15 :: v_dual_sub_nc_u32 v16, 0, v15
	v_cmpx_lt_i32_e32 -1, v15
	s_cbranch_execnz .LBB74_20
; %bb.18:                               ;   in Loop: Header=BB74_17 Depth=3
	s_or_b32 exec_lo, exec_lo, s80
	v_mov_b32_e32 v17, 1
	s_and_saveexec_b32 s80, s43
	s_cbranch_execnz .LBB74_21
.LBB74_19:                              ;   in Loop: Header=BB74_17 Depth=3
	s_or_b32 exec_lo, exec_lo, s80
	s_delay_alu instid0(SALU_CYCLE_1)
	s_and_not1_b32 vcc_lo, exec_lo, s67
	s_cbranch_vccz .LBB74_22
	s_branch .LBB74_16
.LBB74_20:                              ;   in Loop: Header=BB74_17 Depth=3
	s_delay_alu instid0(VALU_DEP_2) | instskip(SKIP_1) | instid1(VALU_DEP_1)
	v_max_i32_e32 v2, v15, v16
	s_and_not1_b32 s43, s43, exec_lo
	v_mul_u64_e32 v[18:19], s[50:51], v[2:3]
	s_delay_alu instid0(VALU_DEP_1) | instskip(NEXT) | instid1(VALU_DEP_1)
	v_mul_lo_u32 v17, v19, s74
	v_sub_nc_u32_e32 v2, v2, v17
	s_delay_alu instid0(VALU_DEP_1) | instskip(SKIP_1) | instid1(VALU_DEP_2)
	v_subrev_nc_u32_e32 v17, s74, v2
	v_cmp_le_u32_e32 vcc_lo, s74, v2
	v_cndmask_b32_e32 v2, v2, v17, vcc_lo
	s_delay_alu instid0(VALU_DEP_1) | instskip(SKIP_1) | instid1(VALU_DEP_2)
	v_subrev_nc_u32_e32 v17, s74, v2
	v_cmp_le_u32_e32 vcc_lo, s74, v2
	v_cndmask_b32_e32 v2, v2, v17, vcc_lo
	s_delay_alu instid0(VALU_DEP_1) | instskip(NEXT) | instid1(VALU_DEP_1)
	v_xor_b32_e32 v2, v2, v14
	v_sub_nc_u32_e32 v2, v2, v14
	s_delay_alu instid0(VALU_DEP_1) | instskip(SKIP_1) | instid1(SALU_CYCLE_1)
	v_cmp_ne_u32_e32 vcc_lo, 0, v2
	s_and_b32 s81, vcc_lo, exec_lo
	s_or_b32 s43, s43, s81
	s_or_b32 exec_lo, exec_lo, s80
	v_mov_b32_e32 v17, 1
	s_and_saveexec_b32 s80, s43
	s_cbranch_execz .LBB74_19
.LBB74_21:                              ;   in Loop: Header=BB74_17 Depth=3
	v_mov_b32_e32 v17, 0
	s_or_b32 exec_lo, exec_lo, s80
	s_delay_alu instid0(SALU_CYCLE_1)
	s_and_not1_b32 vcc_lo, exec_lo, s67
	s_cbranch_vccnz .LBB74_16
.LBB74_22:                              ;   in Loop: Header=BB74_17 Depth=3
	v_max_i32_e32 v2, v15, v16
	s_mov_b32 s43, 0
	s_delay_alu instid0(VALU_DEP_1) | instskip(NEXT) | instid1(VALU_DEP_1)
	v_mul_u64_e32 v[18:19], s[50:51], v[2:3]
	v_mul_lo_u32 v15, v19, s74
	s_delay_alu instid0(VALU_DEP_1) | instskip(SKIP_1) | instid1(VALU_DEP_2)
	v_sub_nc_u32_e32 v2, v2, v15
	v_add_nc_u32_e32 v15, 1, v19
	v_cmp_le_u32_e32 vcc_lo, s74, v2
	s_delay_alu instid0(VALU_DEP_2) | instskip(SKIP_1) | instid1(VALU_DEP_1)
	v_cndmask_b32_e32 v15, v19, v15, vcc_lo
	v_subrev_nc_u32_e32 v16, s74, v2
	v_dual_cndmask_b32 v2, v2, v16, vcc_lo :: v_dual_add_nc_u32 v16, 1, v15
	s_delay_alu instid0(VALU_DEP_1) | instskip(NEXT) | instid1(VALU_DEP_2)
	v_cmp_le_u32_e32 vcc_lo, s74, v2
	v_dual_cndmask_b32 v2, v15, v16, vcc_lo :: v_dual_bitop2_b32 v14, s78, v14 bitop3:0x14
	s_delay_alu instid0(VALU_DEP_1) | instskip(NEXT) | instid1(VALU_DEP_1)
	v_xor_b32_e32 v2, v2, v14
	v_sub_nc_u32_e32 v18, v2, v14
	s_delay_alu instid0(VALU_DEP_1) | instskip(SKIP_2) | instid1(VALU_DEP_2)
	v_cmp_gt_i32_e32 vcc_lo, s44, v18
	v_dual_cndmask_b32 v2, 0, v17 :: v_dual_ashrrev_i32 v19, 31, v18
	v_mov_b64_e32 v[16:17], v[12:13]
	v_and_b32_e32 v23, s2, v2
	s_delay_alu instid0(VALU_DEP_3) | instskip(NEXT) | instid1(VALU_DEP_1)
	v_add_nc_u64_e32 v[14:15], s[0:1], v[18:19]
	v_mul_u64_e32 v[14:15], s[46:47], v[14:15]
	s_branch .LBB74_24
.LBB74_23:                              ;   in Loop: Header=BB74_24 Depth=4
	v_add_nc_u64_e32 v[16:17], s[60:61], v[16:17]
	s_add_co_i32 s43, s43, 1
	s_delay_alu instid0(SALU_CYCLE_1)
	s_cmp_eq_u32 s43, s34
	s_cbranch_scc1 .LBB74_16
.LBB74_24:                              ;   Parent Loop BB74_3 Depth=1
                                        ;     Parent Loop BB74_8 Depth=2
                                        ;       Parent Loop BB74_17 Depth=3
                                        ; =>      This Loop Header: Depth=4
                                        ;           Child Loop BB74_31 Depth 5
	s_mul_i32 s80, s18, s43
	s_delay_alu instid0(SALU_CYCLE_1) | instskip(NEXT) | instid1(VALU_DEP_1)
	v_subrev_nc_u32_e32 v2, s80, v22
	v_dual_sub_nc_u32 v19, 0, v2 :: v_dual_ashrrev_i32 v18, 31, v2
	v_cmp_gt_i32_e64 s80, 0, v2
	v_cmp_lt_i32_e32 vcc_lo, -1, v2
	s_delay_alu instid0(VALU_DEP_3)
	v_max_i32_e32 v2, v2, v19
	s_and_saveexec_b32 s81, vcc_lo
	s_cbranch_execnz .LBB74_27
; %bb.25:                               ;   in Loop: Header=BB74_24 Depth=4
	s_or_b32 exec_lo, exec_lo, s81
	v_mov_b32_e32 v20, 1
	s_and_saveexec_b32 s81, s80
	s_cbranch_execnz .LBB74_28
.LBB74_26:                              ;   in Loop: Header=BB74_24 Depth=4
	s_or_b32 exec_lo, exec_lo, s81
	s_delay_alu instid0(SALU_CYCLE_1)
	s_and_not1_b32 vcc_lo, exec_lo, s68
	s_cbranch_vccz .LBB74_29
	s_branch .LBB74_23
.LBB74_27:                              ;   in Loop: Header=BB74_24 Depth=4
	s_delay_alu instid0(VALU_DEP_1) | instskip(SKIP_1) | instid1(VALU_DEP_1)
	v_mul_u64_e32 v[20:21], s[14:15], v[2:3]
	s_and_not1_b32 s80, s80, exec_lo
	v_mul_lo_u32 v19, v21, s76
	s_delay_alu instid0(VALU_DEP_1) | instskip(NEXT) | instid1(VALU_DEP_1)
	v_sub_nc_u32_e32 v19, v2, v19
	v_subrev_nc_u32_e32 v20, s76, v19
	v_cmp_le_u32_e32 vcc_lo, s76, v19
	s_delay_alu instid0(VALU_DEP_2) | instskip(NEXT) | instid1(VALU_DEP_1)
	v_cndmask_b32_e32 v19, v19, v20, vcc_lo
	v_subrev_nc_u32_e32 v20, s76, v19
	v_cmp_le_u32_e32 vcc_lo, s76, v19
	s_delay_alu instid0(VALU_DEP_2) | instskip(NEXT) | instid1(VALU_DEP_1)
	v_cndmask_b32_e32 v19, v19, v20, vcc_lo
	v_xor_b32_e32 v19, v19, v18
	s_delay_alu instid0(VALU_DEP_1) | instskip(NEXT) | instid1(VALU_DEP_1)
	v_sub_nc_u32_e32 v19, v19, v18
	v_cmp_ne_u32_e32 vcc_lo, 0, v19
	s_and_b32 s82, vcc_lo, exec_lo
	s_delay_alu instid0(SALU_CYCLE_1)
	s_or_b32 s80, s80, s82
	s_or_b32 exec_lo, exec_lo, s81
	v_mov_b32_e32 v20, 1
	s_and_saveexec_b32 s81, s80
	s_cbranch_execz .LBB74_26
.LBB74_28:                              ;   in Loop: Header=BB74_24 Depth=4
	v_mov_b32_e32 v20, 0
	s_or_b32 exec_lo, exec_lo, s81
	s_delay_alu instid0(SALU_CYCLE_1)
	s_and_not1_b32 vcc_lo, exec_lo, s68
	s_cbranch_vccnz .LBB74_23
.LBB74_29:                              ;   in Loop: Header=BB74_24 Depth=4
	v_mul_u64_e32 v[24:25], s[14:15], v[2:3]
	s_mov_b32 s80, s8
	v_xor_b32_e32 v18, s79, v18
	s_delay_alu instid0(VALU_DEP_2) | instskip(NEXT) | instid1(VALU_DEP_1)
	v_mul_lo_u32 v19, v25, s76
	v_dual_sub_nc_u32 v2, v2, v19 :: v_dual_add_nc_u32 v19, 1, v25
	s_delay_alu instid0(VALU_DEP_1) | instskip(SKIP_1) | instid1(VALU_DEP_2)
	v_subrev_nc_u32_e32 v21, s76, v2
	v_cmp_le_u32_e32 vcc_lo, s76, v2
	v_dual_cndmask_b32 v19, v25, v19 :: v_dual_cndmask_b32 v2, v2, v21
	s_delay_alu instid0(VALU_DEP_1) | instskip(NEXT) | instid1(VALU_DEP_2)
	v_add_nc_u32_e32 v21, 1, v19
	v_cmp_le_u32_e32 vcc_lo, s76, v2
	s_delay_alu instid0(VALU_DEP_2) | instskip(NEXT) | instid1(VALU_DEP_1)
	v_cndmask_b32_e32 v2, v19, v21, vcc_lo
	v_xor_b32_e32 v2, v2, v18
	s_delay_alu instid0(VALU_DEP_1) | instskip(NEXT) | instid1(VALU_DEP_1)
	v_sub_nc_u32_e32 v24, v2, v18
	v_cmp_gt_i32_e32 vcc_lo, s46, v24
	v_cndmask_b32_e32 v2, 0, v20, vcc_lo
	v_ashrrev_i32_e32 v25, 31, v24
	v_mov_b64_e32 v[20:21], v[16:17]
	s_delay_alu instid0(VALU_DEP_3) | instskip(NEXT) | instid1(VALU_DEP_3)
	v_and_b32_e32 v2, v23, v2
	v_add_nc_u64_e32 v[18:19], v[14:15], v[24:25]
	s_delay_alu instid0(VALU_DEP_2) | instskip(NEXT) | instid1(VALU_DEP_2)
	v_and_b32_e32 v2, 1, v2
	v_lshl_add_u64 v[26:27], v[18:19], 2, s[54:55]
	s_delay_alu instid0(VALU_DEP_2) | instskip(NEXT) | instid1(VALU_DEP_2)
	v_cmp_eq_u32_e32 vcc_lo, 1, v2
	v_mad_nc_u64_u32 v[18:19], s64, v26, s[52:53]
	s_delay_alu instid0(VALU_DEP_1) | instskip(NEXT) | instid1(VALU_DEP_1)
	v_mad_u32 v19, s7, v26, v19
	v_mad_u32 v19, s64, v27, v19
	s_branch .LBB74_31
.LBB74_30:                              ;   in Loop: Header=BB74_31 Depth=5
	s_wait_xcnt 0x0
	s_or_b32 exec_lo, exec_lo, s81
	s_delay_alu instid0(VALU_DEP_1) | instskip(SKIP_2) | instid1(SALU_CYCLE_1)
	v_add_nc_u64_e32 v[18:19], 4, v[18:19]
	v_add_nc_u64_e32 v[20:21], s[62:63], v[20:21]
	s_add_co_i32 s80, s80, -1
	s_cmp_eq_u32 s80, 0
	s_cbranch_scc1 .LBB74_23
.LBB74_31:                              ;   Parent Loop BB74_3 Depth=1
                                        ;     Parent Loop BB74_8 Depth=2
                                        ;       Parent Loop BB74_17 Depth=3
                                        ;         Parent Loop BB74_24 Depth=4
                                        ; =>        This Inner Loop Header: Depth=5
	s_and_saveexec_b32 s81, vcc_lo
	s_cbranch_execz .LBB74_30
; %bb.32:                               ;   in Loop: Header=BB74_31 Depth=5
	global_load_b32 v2, v[18:19], off
	global_load_b32 v26, v[20:21], off
	s_wait_loadcnt 0x1
	v_cvt_f64_f32_e32 v[24:25], v2
	s_wait_loadcnt 0x0
	v_cvt_f64_f32_e32 v[26:27], v26
	s_delay_alu instid0(VALU_DEP_1)
	v_fmac_f64_e32 v[6:7], v[24:25], v[26:27]
	s_branch .LBB74_30
.LBB74_33:                              ;   in Loop: Header=BB74_3 Depth=1
	s_delay_alu instid0(VALU_DEP_1) | instskip(SKIP_1) | instid1(VALU_DEP_1)
	v_ashrrev_i32_e32 v9, 31, v8
	s_and_not1_b32 vcc_lo, exec_lo, s70
	v_mad_nc_i64_i32 v[8:9], v1, s6, v[8:9]
	s_delay_alu instid0(VALU_DEP_1) | instskip(NEXT) | instid1(VALU_DEP_1)
	v_mul_u64_e32 v[8:9], s[36:37], v[8:9]
	v_lshl_add_u64 v[8:9], v[8:9], 2, s[20:21]
	s_delay_alu instid0(VALU_DEP_1)
	v_lshl_add_u64 v[4:5], v[4:5], 2, v[8:9]
	s_cbranch_vccnz .LBB74_2
; %bb.34:                               ;   in Loop: Header=BB74_3 Depth=1
	global_load_b32 v1, v[4:5], off
	s_wait_loadcnt 0x0
	v_cvt_f64_f32_e32 v[8:9], v1
	s_delay_alu instid0(VALU_DEP_1) | instskip(NEXT) | instid1(VALU_DEP_1)
	v_mul_f64_e32 v[8:9], s[26:27], v[8:9]
	v_fmac_f64_e32 v[8:9], s[24:25], v[6:7]
	s_delay_alu instid0(VALU_DEP_1)
	v_mov_b64_e32 v[6:7], v[8:9]
	s_branch .LBB74_2
.LBB74_35:
	s_endpgm
	.section	.rodata,"a",@progbits
	.p2align	6, 0x0
	.amdhsa_kernel naive_conv_ab_packed_bwd_ndhwc_float_double_float
		.amdhsa_group_segment_fixed_size 0
		.amdhsa_private_segment_fixed_size 0
		.amdhsa_kernarg_size 528
		.amdhsa_user_sgpr_count 2
		.amdhsa_user_sgpr_dispatch_ptr 0
		.amdhsa_user_sgpr_queue_ptr 0
		.amdhsa_user_sgpr_kernarg_segment_ptr 1
		.amdhsa_user_sgpr_dispatch_id 0
		.amdhsa_user_sgpr_kernarg_preload_length 0
		.amdhsa_user_sgpr_kernarg_preload_offset 0
		.amdhsa_user_sgpr_private_segment_size 0
		.amdhsa_wavefront_size32 1
		.amdhsa_uses_dynamic_stack 0
		.amdhsa_enable_private_segment 0
		.amdhsa_system_sgpr_workgroup_id_x 1
		.amdhsa_system_sgpr_workgroup_id_y 0
		.amdhsa_system_sgpr_workgroup_id_z 0
		.amdhsa_system_sgpr_workgroup_info 0
		.amdhsa_system_vgpr_workitem_id 0
		.amdhsa_next_free_vgpr 28
		.amdhsa_next_free_sgpr 83
		.amdhsa_named_barrier_count 0
		.amdhsa_reserve_vcc 1
		.amdhsa_float_round_mode_32 0
		.amdhsa_float_round_mode_16_64 0
		.amdhsa_float_denorm_mode_32 3
		.amdhsa_float_denorm_mode_16_64 3
		.amdhsa_fp16_overflow 0
		.amdhsa_memory_ordered 1
		.amdhsa_forward_progress 1
		.amdhsa_inst_pref_size 22
		.amdhsa_round_robin_scheduling 0
		.amdhsa_exception_fp_ieee_invalid_op 0
		.amdhsa_exception_fp_denorm_src 0
		.amdhsa_exception_fp_ieee_div_zero 0
		.amdhsa_exception_fp_ieee_overflow 0
		.amdhsa_exception_fp_ieee_underflow 0
		.amdhsa_exception_fp_ieee_inexact 0
		.amdhsa_exception_int_div_zero 0
	.end_amdhsa_kernel
	.text
.Lfunc_end74:
	.size	naive_conv_ab_packed_bwd_ndhwc_float_double_float, .Lfunc_end74-naive_conv_ab_packed_bwd_ndhwc_float_double_float
                                        ; -- End function
	.set naive_conv_ab_packed_bwd_ndhwc_float_double_float.num_vgpr, 28
	.set naive_conv_ab_packed_bwd_ndhwc_float_double_float.num_agpr, 0
	.set naive_conv_ab_packed_bwd_ndhwc_float_double_float.numbered_sgpr, 83
	.set naive_conv_ab_packed_bwd_ndhwc_float_double_float.num_named_barrier, 0
	.set naive_conv_ab_packed_bwd_ndhwc_float_double_float.private_seg_size, 0
	.set naive_conv_ab_packed_bwd_ndhwc_float_double_float.uses_vcc, 1
	.set naive_conv_ab_packed_bwd_ndhwc_float_double_float.uses_flat_scratch, 0
	.set naive_conv_ab_packed_bwd_ndhwc_float_double_float.has_dyn_sized_stack, 0
	.set naive_conv_ab_packed_bwd_ndhwc_float_double_float.has_recursion, 0
	.set naive_conv_ab_packed_bwd_ndhwc_float_double_float.has_indirect_call, 0
	.section	.AMDGPU.csdata,"",@progbits
; Kernel info:
; codeLenInByte = 2772
; TotalNumSgprs: 85
; NumVgprs: 28
; ScratchSize: 0
; MemoryBound: 0
; FloatMode: 240
; IeeeMode: 1
; LDSByteSize: 0 bytes/workgroup (compile time only)
; SGPRBlocks: 0
; VGPRBlocks: 1
; NumSGPRsForWavesPerEU: 85
; NumVGPRsForWavesPerEU: 28
; NamedBarCnt: 0
; Occupancy: 16
; WaveLimiterHint : 1
; COMPUTE_PGM_RSRC2:SCRATCH_EN: 0
; COMPUTE_PGM_RSRC2:USER_SGPR: 2
; COMPUTE_PGM_RSRC2:TRAP_HANDLER: 0
; COMPUTE_PGM_RSRC2:TGID_X_EN: 1
; COMPUTE_PGM_RSRC2:TGID_Y_EN: 0
; COMPUTE_PGM_RSRC2:TGID_Z_EN: 0
; COMPUTE_PGM_RSRC2:TIDIG_COMP_CNT: 0
	.text
	.protected	naive_conv_ab_nonpacked_bwd_ndhwc_float_double_float ; -- Begin function naive_conv_ab_nonpacked_bwd_ndhwc_float_double_float
	.globl	naive_conv_ab_nonpacked_bwd_ndhwc_float_double_float
	.p2align	8
	.type	naive_conv_ab_nonpacked_bwd_ndhwc_float_double_float,@function
naive_conv_ab_nonpacked_bwd_ndhwc_float_double_float: ; @naive_conv_ab_nonpacked_bwd_ndhwc_float_double_float
; %bb.0:
	s_load_b512 s[4:19], s[0:1], 0xb8
	s_bfe_u32 s2, ttmp6, 0x4000c
	s_and_b32 s3, ttmp6, 15
	s_add_co_i32 s2, s2, 1
	s_getreg_b32 s20, hwreg(HW_REG_IB_STS2, 6, 4)
	s_mul_i32 s2, ttmp9, s2
	s_mov_b32 s25, exec_lo
	s_add_co_i32 s3, s3, s2
	s_cmp_eq_u32 s20, 0
	s_cselect_b32 s20, ttmp9, s3
	s_wait_kmcnt 0x0
	s_abs_i32 s3, s4
	s_mul_i32 s85, s9, s6
	s_cvt_f32_u32 s2, s3
	s_mul_i32 s33, s85, s5
	s_delay_alu instid0(SALU_CYCLE_2) | instskip(SKIP_1) | instid1(TRANS32_DEP_1)
	v_rcp_iflag_f32_e32 v1, s2
	v_nop
	v_readfirstlane_b32 s2, v1
	s_mul_f32 s2, s2, 0x4f7ffffe
	s_delay_alu instid0(SALU_CYCLE_3) | instskip(SKIP_1) | instid1(SALU_CYCLE_2)
	s_cvt_u32_f32 s21, s2
	s_sub_co_i32 s2, 0, s3
	s_mul_i32 s2, s2, s21
	s_delay_alu instid0(SALU_CYCLE_1) | instskip(SKIP_2) | instid1(SALU_CYCLE_1)
	s_mul_hi_u32 s22, s21, s2
	s_abs_i32 s2, s20
	s_add_co_i32 s21, s21, s22
	s_mul_hi_u32 s21, s2, s21
	s_delay_alu instid0(SALU_CYCLE_1) | instskip(SKIP_2) | instid1(SALU_CYCLE_1)
	s_mul_i32 s22, s21, s3
	s_add_co_i32 s23, s21, 1
	s_sub_co_i32 s22, s2, s22
	s_sub_co_i32 s24, s22, s3
	s_cmp_ge_u32 s22, s3
	s_cselect_b32 s21, s23, s21
	s_cselect_b32 s22, s24, s22
	s_add_co_i32 s23, s21, 1
	s_cmp_ge_u32 s22, s3
	s_mul_i32 s22, s7, s4
	s_cselect_b32 s23, s23, s21
	s_abs_i32 s21, s7
	s_abs_i32 s7, s22
	s_cvt_f32_u32 s3, s21
	s_cvt_f32_u32 s24, s7
	s_delay_alu instid0(SALU_CYCLE_2) | instskip(NEXT) | instid1(SALU_CYCLE_2)
	v_rcp_iflag_f32_e32 v1, s3
	v_rcp_iflag_f32_e32 v2, s24
	s_mov_b32 s3, 0
	v_nop
	s_delay_alu instid0(TRANS32_DEP_2) | instskip(NEXT) | instid1(TRANS32_DEP_1)
	v_readfirstlane_b32 s24, v1
	v_readfirstlane_b32 s5, v2
	v_cmpx_gt_i32_e64 s33, v0
	s_cbranch_execz .LBB75_35
; %bb.1:
	s_mul_f32 s24, s24, 0x4f7ffffe
	s_ashr_i32 s52, s20, 31
	s_ashr_i32 s25, s4, 31
	s_mul_f32 s5, s5, 0x4f7ffffe
	s_cvt_u32_f32 s26, s24
	s_xor_b32 s25, s52, s25
	s_sub_co_i32 s24, 0, s21
	s_xor_b32 s23, s23, s25
	s_mul_i32 s24, s24, s26
	s_cvt_u32_f32 s5, s5
	s_sub_co_i32 s23, s23, s25
	s_mul_hi_u32 s25, s26, s24
	s_sub_co_i32 s28, 0, s7
	s_abs_i32 s24, s23
	s_add_co_i32 s26, s26, s25
	s_mov_b32 s25, s3
	s_mov_b32 s27, s3
	s_mul_i32 s28, s28, s5
	s_mul_u64 s[26:27], s[24:25], s[26:27]
	s_mul_hi_u32 s25, s5, s28
	s_ashr_i32 s26, s22, 31
	s_add_co_i32 s22, s5, s25
	s_mul_i32 s5, s27, s21
	s_ashr_i32 s53, s23, 31
	s_mul_i32 s23, s23, s4
	s_sub_co_i32 s5, s24, s5
	s_sub_co_i32 s4, s20, s23
	;; [unrolled: 1-line block ×3, first 2 shown]
	s_cmp_ge_u32 s5, s21
	s_mov_b32 s23, s3
	s_cselect_b32 s5, s20, s5
	s_mul_u64 s[34:35], s[2:3], s[22:23]
	s_sub_co_i32 s20, s5, s21
	s_cmp_ge_u32 s5, s21
	s_load_b512 s[36:51], s[0:1], 0x28
	s_cselect_b32 s5, s20, s5
	s_xor_b32 s34, s52, s26
	s_xor_b32 s5, s5, s53
	s_load_b256 s[20:27], s[0:1], 0x0
	s_sub_co_i32 s72, s5, s53
	s_mul_i32 s5, s35, s7
	s_clause 0x1
	s_load_b128 s[28:31], s[0:1], 0xf8
	s_load_b128 s[68:71], s[0:1], 0xa8
	s_sub_co_i32 s2, s2, s5
	s_add_co_i32 s5, s35, 1
	s_sub_co_i32 s52, s2, s7
	s_cmp_ge_u32 s2, s7
	s_clause 0x1
	s_load_b32 s76, s[0:1], 0x108
	s_load_b32 s86, s[0:1], 0x11c
	s_cselect_b32 s5, s5, s35
	s_cselect_b32 s2, s52, s2
	s_add_co_i32 s35, s5, 1
	s_cmp_ge_u32 s2, s7
	s_load_b512 s[52:67], s[0:1], 0x68
	s_cselect_b32 s2, s35, s5
	s_ashr_i32 s73, s72, 31
	s_xor_b32 s2, s2, s34
	s_ashr_i32 s5, s4, 31
	s_sub_co_i32 s74, s2, s34
	s_wait_kmcnt 0x0
	v_cmp_neq_f64_e64 s2, s[24:25], 1.0
	s_ashr_i32 s75, s74, 31
	v_cmp_neq_f64_e64 s7, s[26:27], 0
	s_mul_u64 s[34:35], s[46:47], s[72:73]
	s_mul_u64 s[44:45], s[44:45], s[4:5]
	;; [unrolled: 1-line block ×3, first 2 shown]
	s_lshl_b64 s[34:35], s[34:35], 2
	s_lshl_b64 s[44:45], s[44:45], 2
	;; [unrolled: 1-line block ×3, first 2 shown]
	s_cmp_lt_i32 s30, 1
	s_load_b64 s[0:1], s[0:1], 0x20
	s_cselect_b32 s77, -1, 0
	s_add_co_i32 s19, s4, s19
	s_cmp_gt_i32 s31, 0
	s_mul_u64 s[88:89], s[58:59], s[74:75]
	s_cselect_b32 s78, -1, 0
	s_cmp_gt_i32 s76, 0
	s_mul_u64 s[62:63], s[62:63], s[74:75]
	s_cselect_b32 s79, -1, 0
	s_cmp_gt_i32 s8, 0
	v_mov_b32_e32 v3, 0
	s_cselect_b32 s80, -1, 0
	s_abs_i32 s81, s9
	s_abs_i32 s82, s6
	s_cvt_f32_u32 s4, s81
	s_cvt_f32_u32 s6, s82
	s_abs_i32 s84, s85
	s_abs_i32 s74, s13
	v_rcp_iflag_f32_e32 v1, s4
	v_rcp_iflag_f32_e32 v2, s6
	s_add_nc_u64 s[4:5], s[20:21], s[34:35]
	s_lshl_b64 s[20:21], s[52:53], 2
	s_cvt_f32_u32 s52, s84
	s_lshl_b64 s[34:35], s[56:57], 2
	s_or_b32 s83, s2, s7
	v_nop
	v_readfirstlane_b32 s6, v1
	v_rcp_iflag_f32_e32 v1, s52
	v_readfirstlane_b32 s87, v2
	s_cvt_f32_u32 s56, s74
	s_sub_co_i32 s53, 0, s81
	s_mul_f32 s2, s6, 0x4f7ffffe
	s_lshl_b64 s[6:7], s[54:55], 2
	s_mul_f32 s52, s87, 0x4f7ffffe
	v_readfirstlane_b32 s55, v1
	s_cvt_u32_f32 s2, s2
	v_rcp_iflag_f32_e32 v1, s56
	s_cvt_u32_f32 s54, s52
	s_sub_co_i32 s57, 0, s82
	s_mul_i32 s53, s53, s2
	s_abs_i32 s75, s14
	s_mul_hi_u32 s53, s2, s53
	s_mul_i32 s57, s57, s54
	s_add_co_i32 s52, s2, s53
	s_mul_f32 s2, s55, 0x4f7ffffe
	v_nop
	v_readfirstlane_b32 s56, v1
	s_mul_hi_u32 s55, s54, s57
	s_cvt_f32_u32 s58, s75
	s_cvt_u32_f32 s2, s2
	s_add_co_i32 s54, s54, s55
	s_sub_co_i32 s55, 0, s84
	s_add_nc_u64 s[4:5], s[4:5], s[44:45]
	s_mul_i32 s57, s55, s2
	s_mul_f32 s59, s56, 0x4f7ffffe
	v_rcp_iflag_f32_e32 v1, s58
	s_add_nc_u64 s[4:5], s[4:5], s[38:39]
	s_lshl_b64 s[38:39], s[66:67], 2
	s_and_b32 s66, s86, 0xffff
	s_mul_hi_u32 s57, s2, s57
	s_abs_i32 s86, s15
	s_add_co_i32 s56, s2, s57
	s_cvt_u32_f32 s2, s59
	s_cvt_f32_u32 s59, s86
	s_lshl_b64 s[46:47], s[60:61], 2
	v_nop
	v_readfirstlane_b32 s60, v1
	s_sub_co_i32 s58, 0, s74
	v_rcp_iflag_f32_e32 v1, s59
	s_lshl_b64 s[44:45], s[64:65], 2
	s_mul_i32 s58, s58, s2
	s_mul_f32 s60, s60, 0x4f7ffffe
	s_mul_hi_u32 s58, s2, s58
	s_sub_co_i32 s65, 0, s75
	s_add_co_i32 s58, s2, s58
	v_nop
	v_readfirstlane_b32 s64, v1
	s_cvt_u32_f32 s2, s60
	s_mul_u64 s[60:61], s[70:71], s[72:73]
	s_lshl_b64 s[62:63], s[62:63], 2
	s_lshl_b64 s[60:61], s[60:61], 2
	s_mul_f32 s64, s64, 0x4f7ffffe
	s_ashr_i32 s70, s14, 31
	s_mul_i32 s65, s65, s2
	s_add_nc_u64 s[62:63], s[62:63], s[60:61]
	s_cvt_u32_f32 s14, s64
	s_mul_hi_u32 s60, s2, s65
	s_sub_co_i32 s61, 0, s86
	s_add_co_i32 s60, s2, s60
	s_mul_i32 s2, s61, s14
	s_wait_kmcnt 0x0
	s_add_nc_u64 s[62:63], s[0:1], s[62:63]
	s_mul_hi_u32 s2, s14, s2
	s_lshl_b64 s[0:1], s[88:89], 2
	s_ashr_i32 s67, s9, 31
	s_mov_b32 s53, s3
	s_mov_b32 s55, s3
	s_ashr_i32 s85, s85, 31
	s_mov_b32 s57, s3
	s_ashr_i32 s13, s13, 31
	s_mov_b32 s59, s3
	s_mov_b32 s61, s3
	s_ashr_i32 s71, s15, 31
	s_add_co_i32 s14, s14, s2
	s_mov_b32 s15, s3
	s_add_nc_u64 s[22:23], s[22:23], s[0:1]
	s_lshl_b64 s[48:49], s[48:49], 2
	s_lshl_b64 s[50:51], s[50:51], 2
	;; [unrolled: 1-line block ×3, first 2 shown]
	s_mov_b32 s68, 0
	s_branch .LBB75_3
.LBB75_2:                               ;   in Loop: Header=BB75_3 Depth=1
	s_delay_alu instid0(VALU_DEP_1) | instskip(SKIP_1) | instid1(VALU_DEP_1)
	v_cvt_f32_f64_e32 v1, v[6:7]
	v_add_nc_u32_e32 v0, s66, v0
	v_cmp_le_i32_e32 vcc_lo, s33, v0
	s_or_b32 s68, vcc_lo, s68
	global_store_b32 v[4:5], v1, off
	s_wait_xcnt 0x0
	s_and_not1_b32 exec_lo, exec_lo, s68
	s_cbranch_execz .LBB75_35
.LBB75_3:                               ; =>This Loop Header: Depth=1
                                        ;     Child Loop BB75_8 Depth 2
                                        ;       Child Loop BB75_17 Depth 3
                                        ;         Child Loop BB75_24 Depth 4
                                        ;           Child Loop BB75_31 Depth 5
	v_sub_nc_u32_e32 v1, 0, v0
	s_mov_b32 s69, -1
	s_delay_alu instid0(VALU_DEP_1) | instskip(NEXT) | instid1(VALU_DEP_1)
	v_max_i32_e32 v2, v0, v1
	v_mul_u64_e32 v[4:5], s[52:53], v[2:3]
	s_delay_alu instid0(VALU_DEP_1) | instskip(NEXT) | instid1(VALU_DEP_1)
	v_mul_lo_u32 v1, v5, s81
	v_sub_nc_u32_e32 v4, v2, v1
	v_add_nc_u32_e32 v1, 1, v5
	s_delay_alu instid0(VALU_DEP_2) | instskip(NEXT) | instid1(VALU_DEP_2)
	v_cmp_le_u32_e32 vcc_lo, s81, v4
	v_dual_cndmask_b32 v5, v5, v1, vcc_lo :: v_dual_ashrrev_i32 v1, 31, v0
	v_subrev_nc_u32_e32 v6, s81, v4
	s_delay_alu instid0(VALU_DEP_1) | instskip(NEXT) | instid1(VALU_DEP_1)
	v_dual_cndmask_b32 v4, v4, v6, vcc_lo :: v_dual_add_nc_u32 v6, 1, v5
	v_cmp_le_u32_e32 vcc_lo, s81, v4
	s_delay_alu instid0(VALU_DEP_2) | instskip(NEXT) | instid1(VALU_DEP_1)
	v_dual_cndmask_b32 v4, v5, v6, vcc_lo :: v_dual_bitop2_b32 v7, s67, v1 bitop3:0x14
	v_dual_mov_b32 v5, v3 :: v_dual_bitop2_b32 v4, v4, v7 bitop3:0x14
	s_delay_alu instid0(VALU_DEP_1) | instskip(SKIP_1) | instid1(VALU_DEP_1)
	v_sub_nc_u32_e32 v8, v4, v7
	v_mul_u64_e32 v[6:7], s[56:57], v[2:3]
	v_mul_lo_u32 v6, v7, s84
	s_delay_alu instid0(VALU_DEP_3) | instskip(NEXT) | instid1(VALU_DEP_1)
	v_sub_nc_u32_e32 v4, 0, v8
	v_max_i32_e32 v4, v8, v4
	s_delay_alu instid0(VALU_DEP_1) | instskip(NEXT) | instid1(VALU_DEP_1)
	v_mul_u64_e32 v[10:11], s[54:55], v[4:5]
	v_mul_lo_u32 v5, v11, s82
	s_delay_alu instid0(VALU_DEP_1) | instskip(SKIP_1) | instid1(VALU_DEP_2)
	v_dual_sub_nc_u32 v4, v4, v5 :: v_dual_sub_nc_u32 v5, v2, v6
	v_mul_lo_u32 v6, v8, s9
	v_subrev_nc_u32_e32 v2, s82, v4
	s_delay_alu instid0(VALU_DEP_3) | instskip(SKIP_2) | instid1(VALU_DEP_1)
	v_subrev_nc_u32_e32 v9, s84, v5
	v_cmp_le_u32_e32 vcc_lo, s82, v4
	v_cmp_le_u32_e64 s0, s84, v5
	v_dual_cndmask_b32 v2, v4, v2, vcc_lo :: v_dual_cndmask_b32 v5, v5, v9, s0
	v_sub_nc_u32_e32 v4, v0, v6
	s_and_not1_b32 vcc_lo, exec_lo, s77
	s_delay_alu instid0(VALU_DEP_2) | instskip(NEXT) | instid1(VALU_DEP_3)
	v_cmp_le_u32_e64 s2, s82, v2
	v_cmp_le_u32_e64 s1, s84, v5
	s_cbranch_vccnz .LBB75_5
; %bb.4:                                ;   in Loop: Header=BB75_3 Depth=1
	v_ashrrev_i32_e32 v5, 31, v4
	s_mov_b32 s69, 0
.LBB75_5:                               ;   in Loop: Header=BB75_3 Depth=1
	v_dual_add_nc_u32 v6, 1, v7 :: v_dual_ashrrev_i32 v8, 31, v8
	s_and_not1_b32 vcc_lo, exec_lo, s69
	s_delay_alu instid0(VALU_DEP_1) | instskip(SKIP_1) | instid1(VALU_DEP_1)
	v_dual_cndmask_b32 v6, v7, v6, s0 :: v_dual_bitop2_b32 v1, s85, v1 bitop3:0x14
	v_subrev_nc_u32_e32 v7, s82, v2
	v_dual_cndmask_b32 v2, v2, v7, s2 :: v_dual_add_nc_u32 v9, 1, v6
	s_delay_alu instid0(VALU_DEP_1) | instskip(NEXT) | instid1(VALU_DEP_1)
	v_cndmask_b32_e64 v6, v6, v9, s1
	v_xor_b32_e32 v9, v6, v1
	s_delay_alu instid0(VALU_DEP_3) | instskip(SKIP_1) | instid1(VALU_DEP_2)
	v_xor_b32_e32 v2, v2, v8
	v_mov_b64_e32 v[6:7], 0
	v_dual_sub_nc_u32 v10, v9, v1 :: v_dual_sub_nc_u32 v8, v2, v8
	s_cbranch_vccnz .LBB75_33
; %bb.6:                                ;   in Loop: Header=BB75_3 Depth=1
	v_mad_nc_u64_u32 v[12:13], s48, v4, s[22:23]
	v_ashrrev_i32_e32 v5, 31, v4
	v_mov_b64_e32 v[6:7], 0
	v_add_nc_u32_e32 v9, s29, v8
	s_mov_b32 s69, 0
	s_delay_alu instid0(VALU_DEP_4) | instskip(NEXT) | instid1(VALU_DEP_1)
	v_mad_u32 v1, s49, v4, v13
	v_mad_u32 v13, s48, v5, v1
	v_add_nc_u32_e32 v1, s28, v10
	s_branch .LBB75_8
.LBB75_7:                               ;   in Loop: Header=BB75_8 Depth=2
	v_add_nc_u64_e32 v[12:13], s[6:7], v[12:13]
	s_add_co_i32 s69, s69, 1
	s_delay_alu instid0(SALU_CYCLE_1)
	s_cmp_eq_u32 s69, s30
	s_cbranch_scc1 .LBB75_33
.LBB75_8:                               ;   Parent Loop BB75_3 Depth=1
                                        ; =>  This Loop Header: Depth=2
                                        ;       Child Loop BB75_17 Depth 3
                                        ;         Child Loop BB75_24 Depth 4
                                        ;           Child Loop BB75_31 Depth 5
	s_mul_i32 s0, s16, s69
	s_mov_b32 s88, -1
	s_sub_co_i32 s73, s19, s0
	s_mov_b32 s87, 0
	s_cmp_gt_i32 s73, -1
                                        ; implicit-def: $sgpr2
                                        ; implicit-def: $sgpr1
                                        ; implicit-def: $sgpr0
                                        ; implicit-def: $sgpr72
	s_cbranch_scc1 .LBB75_12
; %bb.9:                                ;   in Loop: Header=BB75_8 Depth=2
	s_and_not1_b32 vcc_lo, exec_lo, s88
	s_cbranch_vccz .LBB75_13
.LBB75_10:                              ;   in Loop: Header=BB75_8 Depth=2
	s_and_not1_b32 vcc_lo, exec_lo, s87
	s_mov_b32 s73, 1
	s_cbranch_vccz .LBB75_14
; %bb.11:                               ;   in Loop: Header=BB75_8 Depth=2
	s_and_not1_b32 vcc_lo, exec_lo, s78
	s_cbranch_vccz .LBB75_15
	s_branch .LBB75_7
.LBB75_12:                              ;   in Loop: Header=BB75_8 Depth=2
	s_abs_i32 s2, s73
	s_delay_alu instid0(SALU_CYCLE_1) | instskip(NEXT) | instid1(SALU_CYCLE_1)
	s_mul_u64 s[0:1], s[2:3], s[58:59]
	s_mul_i32 s0, s1, s74
	s_delay_alu instid0(SALU_CYCLE_1) | instskip(SKIP_4) | instid1(SALU_CYCLE_1)
	s_sub_co_i32 s0, s2, s0
	s_ashr_i32 s2, s73, 31
	s_sub_co_i32 s72, s0, s74
	s_cmp_ge_u32 s0, s74
	s_cselect_b32 s87, s72, s0
	s_sub_co_i32 s88, s87, s74
	s_cmp_ge_u32 s87, s74
	s_cselect_b32 s87, s88, s87
	s_delay_alu instid0(SALU_CYCLE_1) | instskip(NEXT) | instid1(SALU_CYCLE_1)
	s_xor_b32 s87, s87, s2
	s_sub_co_i32 s87, s87, s2
	s_delay_alu instid0(SALU_CYCLE_1)
	s_cmp_lg_u32 s87, 0
	s_cselect_b32 s87, -1, 0
	s_cbranch_execnz .LBB75_10
.LBB75_13:                              ;   in Loop: Header=BB75_8 Depth=2
	s_abs_i32 s2, s73
	s_delay_alu instid0(SALU_CYCLE_1) | instskip(NEXT) | instid1(SALU_CYCLE_1)
	s_mul_u64 s[0:1], s[2:3], s[58:59]
	s_mul_i32 s0, s1, s74
	s_delay_alu instid0(SALU_CYCLE_1)
	s_sub_co_i32 s0, s2, s0
	s_ashr_i32 s2, s73, 31
	s_sub_co_i32 s72, s0, s74
	s_mov_b32 s73, 1
.LBB75_14:                              ;   in Loop: Header=BB75_8 Depth=2
	s_mov_b32 s73, 0
	s_and_not1_b32 vcc_lo, exec_lo, s78
	s_cbranch_vccnz .LBB75_7
.LBB75_15:                              ;   in Loop: Header=BB75_8 Depth=2
	s_xor_b32 s2, s2, s13
	s_add_co_i32 s87, s1, 1
	s_cmp_ge_u32 s0, s74
	v_mov_b64_e32 v[14:15], v[12:13]
	s_cselect_b32 s1, s87, s1
	s_cselect_b32 s0, s72, s0
	s_add_co_i32 s72, s1, 1
	s_cmp_ge_u32 s0, s74
	s_cselect_b32 s0, s72, s1
	s_mov_b32 s72, 0
	s_xor_b32 s0, s0, s2
	s_delay_alu instid0(SALU_CYCLE_1) | instskip(NEXT) | instid1(SALU_CYCLE_1)
	s_sub_co_i32 s0, s0, s2
	s_cmp_lt_i32 s0, s10
	s_cselect_b32 s2, s73, 0
	s_ashr_i32 s1, s0, 31
	s_delay_alu instid0(SALU_CYCLE_1) | instskip(NEXT) | instid1(SALU_CYCLE_1)
	s_mul_u64 s[0:1], s[64:65], s[0:1]
	s_add_nc_u64 s[0:1], s[62:63], s[0:1]
	s_branch .LBB75_17
.LBB75_16:                              ;   in Loop: Header=BB75_17 Depth=3
	v_add_nc_u64_e32 v[14:15], s[20:21], v[14:15]
	s_add_co_i32 s72, s72, 1
	s_delay_alu instid0(SALU_CYCLE_1)
	s_cmp_eq_u32 s72, s31
	s_cbranch_scc1 .LBB75_7
.LBB75_17:                              ;   Parent Loop BB75_3 Depth=1
                                        ;     Parent Loop BB75_8 Depth=2
                                        ; =>    This Loop Header: Depth=3
                                        ;         Child Loop BB75_24 Depth 4
                                        ;           Child Loop BB75_31 Depth 5
	s_mul_i32 s73, s17, s72
	s_mov_b32 s87, exec_lo
	v_subrev_nc_u32_e32 v16, s73, v1
	s_delay_alu instid0(VALU_DEP_1)
	v_cmp_gt_i32_e64 s73, 0, v16
	v_dual_ashrrev_i32 v11, 31, v16 :: v_dual_sub_nc_u32 v17, 0, v16
	v_cmpx_lt_i32_e32 -1, v16
	s_cbranch_execnz .LBB75_20
; %bb.18:                               ;   in Loop: Header=BB75_17 Depth=3
	s_or_b32 exec_lo, exec_lo, s87
	v_mov_b32_e32 v18, 1
	s_and_saveexec_b32 s87, s73
	s_cbranch_execnz .LBB75_21
.LBB75_19:                              ;   in Loop: Header=BB75_17 Depth=3
	s_or_b32 exec_lo, exec_lo, s87
	s_delay_alu instid0(SALU_CYCLE_1)
	s_and_not1_b32 vcc_lo, exec_lo, s79
	s_cbranch_vccz .LBB75_22
	s_branch .LBB75_16
.LBB75_20:                              ;   in Loop: Header=BB75_17 Depth=3
	s_delay_alu instid0(VALU_DEP_2) | instskip(SKIP_1) | instid1(VALU_DEP_1)
	v_max_i32_e32 v2, v16, v17
	s_and_not1_b32 s73, s73, exec_lo
	v_mul_u64_e32 v[18:19], s[60:61], v[2:3]
	s_delay_alu instid0(VALU_DEP_1) | instskip(NEXT) | instid1(VALU_DEP_1)
	v_mul_lo_u32 v18, v19, s75
	v_sub_nc_u32_e32 v2, v2, v18
	s_delay_alu instid0(VALU_DEP_1) | instskip(SKIP_1) | instid1(VALU_DEP_2)
	v_subrev_nc_u32_e32 v18, s75, v2
	v_cmp_le_u32_e32 vcc_lo, s75, v2
	v_cndmask_b32_e32 v2, v2, v18, vcc_lo
	s_delay_alu instid0(VALU_DEP_1) | instskip(SKIP_1) | instid1(VALU_DEP_2)
	v_subrev_nc_u32_e32 v18, s75, v2
	v_cmp_le_u32_e32 vcc_lo, s75, v2
	v_cndmask_b32_e32 v2, v2, v18, vcc_lo
	s_delay_alu instid0(VALU_DEP_1) | instskip(NEXT) | instid1(VALU_DEP_1)
	v_xor_b32_e32 v2, v2, v11
	v_sub_nc_u32_e32 v2, v2, v11
	s_delay_alu instid0(VALU_DEP_1) | instskip(SKIP_1) | instid1(SALU_CYCLE_1)
	v_cmp_ne_u32_e32 vcc_lo, 0, v2
	s_and_b32 s88, vcc_lo, exec_lo
	s_or_b32 s73, s73, s88
	s_or_b32 exec_lo, exec_lo, s87
	v_mov_b32_e32 v18, 1
	s_and_saveexec_b32 s87, s73
	s_cbranch_execz .LBB75_19
.LBB75_21:                              ;   in Loop: Header=BB75_17 Depth=3
	v_mov_b32_e32 v18, 0
	s_or_b32 exec_lo, exec_lo, s87
	s_delay_alu instid0(SALU_CYCLE_1)
	s_and_not1_b32 vcc_lo, exec_lo, s79
	s_cbranch_vccnz .LBB75_16
.LBB75_22:                              ;   in Loop: Header=BB75_17 Depth=3
	v_max_i32_e32 v2, v16, v17
	s_mov_b32 s73, 0
	s_delay_alu instid0(VALU_DEP_1) | instskip(NEXT) | instid1(VALU_DEP_1)
	v_mul_u64_e32 v[16:17], s[60:61], v[2:3]
	v_mul_lo_u32 v16, v17, s75
	s_delay_alu instid0(VALU_DEP_1) | instskip(NEXT) | instid1(VALU_DEP_1)
	v_dual_sub_nc_u32 v2, v2, v16 :: v_dual_add_nc_u32 v16, 1, v17
	v_cmp_le_u32_e32 vcc_lo, s75, v2
	s_delay_alu instid0(VALU_DEP_2) | instskip(SKIP_1) | instid1(VALU_DEP_1)
	v_cndmask_b32_e32 v16, v17, v16, vcc_lo
	v_subrev_nc_u32_e32 v19, s75, v2
	v_dual_cndmask_b32 v2, v2, v19 :: v_dual_add_nc_u32 v17, 1, v16
	s_delay_alu instid0(VALU_DEP_1) | instskip(NEXT) | instid1(VALU_DEP_2)
	v_cmp_le_u32_e32 vcc_lo, s75, v2
	v_dual_cndmask_b32 v2, v16, v17, vcc_lo :: v_dual_bitop2_b32 v11, s70, v11 bitop3:0x14
	s_delay_alu instid0(VALU_DEP_1) | instskip(NEXT) | instid1(VALU_DEP_1)
	v_xor_b32_e32 v2, v2, v11
	v_sub_nc_u32_e32 v2, v2, v11
	s_delay_alu instid0(VALU_DEP_1) | instskip(SKIP_1) | instid1(VALU_DEP_2)
	v_mad_nc_u64_u32 v[16:17], s38, v2, s[0:1]
	v_cmp_gt_i32_e32 vcc_lo, s11, v2
	v_mad_u32 v11, s39, v2, v17
	v_ashrrev_i32_e32 v17, 31, v2
	v_cndmask_b32_e32 v2, 0, v18, vcc_lo
	v_mov_b64_e32 v[18:19], v[14:15]
	s_delay_alu instid0(VALU_DEP_3) | instskip(NEXT) | instid1(VALU_DEP_3)
	v_mad_u32 v17, s38, v17, v11
	v_and_b32_e32 v11, s2, v2
	s_branch .LBB75_24
.LBB75_23:                              ;   in Loop: Header=BB75_24 Depth=4
	v_add_nc_u64_e32 v[18:19], s[50:51], v[18:19]
	s_add_co_i32 s73, s73, 1
	s_delay_alu instid0(SALU_CYCLE_1)
	s_cmp_eq_u32 s73, s76
	s_cbranch_scc1 .LBB75_16
.LBB75_24:                              ;   Parent Loop BB75_3 Depth=1
                                        ;     Parent Loop BB75_8 Depth=2
                                        ;       Parent Loop BB75_17 Depth=3
                                        ; =>      This Loop Header: Depth=4
                                        ;           Child Loop BB75_31 Depth 5
	s_mul_i32 s87, s18, s73
	s_delay_alu instid0(SALU_CYCLE_1) | instskip(NEXT) | instid1(VALU_DEP_1)
	v_subrev_nc_u32_e32 v2, s87, v9
	v_dual_sub_nc_u32 v21, 0, v2 :: v_dual_ashrrev_i32 v20, 31, v2
	v_cmp_gt_i32_e64 s87, 0, v2
	v_cmp_lt_i32_e32 vcc_lo, -1, v2
	s_delay_alu instid0(VALU_DEP_3)
	v_max_i32_e32 v2, v2, v21
	s_and_saveexec_b32 s88, vcc_lo
	s_cbranch_execnz .LBB75_27
; %bb.25:                               ;   in Loop: Header=BB75_24 Depth=4
	s_or_b32 exec_lo, exec_lo, s88
	v_mov_b32_e32 v22, 1
	s_and_saveexec_b32 s88, s87
	s_cbranch_execnz .LBB75_28
.LBB75_26:                              ;   in Loop: Header=BB75_24 Depth=4
	s_or_b32 exec_lo, exec_lo, s88
	s_delay_alu instid0(SALU_CYCLE_1)
	s_and_not1_b32 vcc_lo, exec_lo, s80
	s_cbranch_vccz .LBB75_29
	s_branch .LBB75_23
.LBB75_27:                              ;   in Loop: Header=BB75_24 Depth=4
	s_delay_alu instid0(VALU_DEP_1) | instskip(SKIP_1) | instid1(VALU_DEP_1)
	v_mul_u64_e32 v[22:23], s[14:15], v[2:3]
	s_and_not1_b32 s87, s87, exec_lo
	v_mul_lo_u32 v21, v23, s86
	s_delay_alu instid0(VALU_DEP_1) | instskip(NEXT) | instid1(VALU_DEP_1)
	v_sub_nc_u32_e32 v21, v2, v21
	v_subrev_nc_u32_e32 v22, s86, v21
	v_cmp_le_u32_e32 vcc_lo, s86, v21
	s_delay_alu instid0(VALU_DEP_2) | instskip(NEXT) | instid1(VALU_DEP_1)
	v_cndmask_b32_e32 v21, v21, v22, vcc_lo
	v_subrev_nc_u32_e32 v22, s86, v21
	v_cmp_le_u32_e32 vcc_lo, s86, v21
	s_delay_alu instid0(VALU_DEP_2) | instskip(NEXT) | instid1(VALU_DEP_1)
	v_cndmask_b32_e32 v21, v21, v22, vcc_lo
	v_xor_b32_e32 v21, v21, v20
	s_delay_alu instid0(VALU_DEP_1) | instskip(NEXT) | instid1(VALU_DEP_1)
	v_sub_nc_u32_e32 v21, v21, v20
	v_cmp_ne_u32_e32 vcc_lo, 0, v21
	s_and_b32 s89, vcc_lo, exec_lo
	s_delay_alu instid0(SALU_CYCLE_1)
	s_or_b32 s87, s87, s89
	s_or_b32 exec_lo, exec_lo, s88
	v_mov_b32_e32 v22, 1
	s_and_saveexec_b32 s88, s87
	s_cbranch_execz .LBB75_26
.LBB75_28:                              ;   in Loop: Header=BB75_24 Depth=4
	v_mov_b32_e32 v22, 0
	s_or_b32 exec_lo, exec_lo, s88
	s_delay_alu instid0(SALU_CYCLE_1)
	s_and_not1_b32 vcc_lo, exec_lo, s80
	s_cbranch_vccnz .LBB75_23
.LBB75_29:                              ;   in Loop: Header=BB75_24 Depth=4
	v_mul_u64_e32 v[24:25], s[14:15], v[2:3]
	s_mov_b32 s87, s8
	v_xor_b32_e32 v20, s71, v20
	s_delay_alu instid0(VALU_DEP_2) | instskip(NEXT) | instid1(VALU_DEP_1)
	v_mul_lo_u32 v21, v25, s86
	v_sub_nc_u32_e32 v2, v2, v21
	s_delay_alu instid0(VALU_DEP_1) | instskip(SKIP_1) | instid1(VALU_DEP_1)
	v_cmp_le_u32_e32 vcc_lo, s86, v2
	v_add_nc_u32_e32 v21, 1, v25
	v_cndmask_b32_e32 v21, v25, v21, vcc_lo
	v_subrev_nc_u32_e32 v23, s86, v2
	s_delay_alu instid0(VALU_DEP_1) | instskip(NEXT) | instid1(VALU_DEP_1)
	v_dual_cndmask_b32 v2, v2, v23 :: v_dual_add_nc_u32 v23, 1, v21
	v_cmp_le_u32_e32 vcc_lo, s86, v2
	s_delay_alu instid0(VALU_DEP_2) | instskip(NEXT) | instid1(VALU_DEP_1)
	v_cndmask_b32_e32 v2, v21, v23, vcc_lo
	v_xor_b32_e32 v2, v2, v20
	s_delay_alu instid0(VALU_DEP_1) | instskip(NEXT) | instid1(VALU_DEP_1)
	v_sub_nc_u32_e32 v2, v2, v20
	v_cmp_gt_i32_e32 vcc_lo, s12, v2
	v_cndmask_b32_e32 v22, 0, v22, vcc_lo
	s_delay_alu instid0(VALU_DEP_1) | instskip(SKIP_1) | instid1(VALU_DEP_2)
	v_and_b32_e32 v22, v11, v22
	v_mad_nc_u64_u32 v[20:21], s44, v2, v[16:17]
	v_and_b32_e32 v22, 1, v22
	s_delay_alu instid0(VALU_DEP_1) | instskip(SKIP_1) | instid1(VALU_DEP_4)
	v_cmp_eq_u32_e32 vcc_lo, 1, v22
	v_mov_b64_e32 v[22:23], v[18:19]
	v_mad_u32 v21, s45, v2, v21
	v_ashrrev_i32_e32 v2, 31, v2
	s_delay_alu instid0(VALU_DEP_1)
	v_mad_u32 v21, s44, v2, v21
	s_branch .LBB75_31
.LBB75_30:                              ;   in Loop: Header=BB75_31 Depth=5
	s_wait_xcnt 0x0
	s_or_b32 exec_lo, exec_lo, s88
	v_add_nc_u64_e32 v[22:23], s[34:35], v[22:23]
	s_delay_alu instid0(VALU_DEP_2) | instskip(SKIP_1) | instid1(SALU_CYCLE_1)
	v_add_nc_u64_e32 v[20:21], s[46:47], v[20:21]
	s_add_co_i32 s87, s87, -1
	s_cmp_eq_u32 s87, 0
	s_cbranch_scc1 .LBB75_23
.LBB75_31:                              ;   Parent Loop BB75_3 Depth=1
                                        ;     Parent Loop BB75_8 Depth=2
                                        ;       Parent Loop BB75_17 Depth=3
                                        ;         Parent Loop BB75_24 Depth=4
                                        ; =>        This Inner Loop Header: Depth=5
	s_and_saveexec_b32 s88, vcc_lo
	s_cbranch_execz .LBB75_30
; %bb.32:                               ;   in Loop: Header=BB75_31 Depth=5
	global_load_b32 v2, v[20:21], off
	global_load_b32 v26, v[22:23], off
	s_wait_loadcnt 0x1
	v_cvt_f64_f32_e32 v[24:25], v2
	s_wait_loadcnt 0x0
	v_cvt_f64_f32_e32 v[26:27], v26
	s_delay_alu instid0(VALU_DEP_1)
	v_fmac_f64_e32 v[6:7], v[24:25], v[26:27]
	s_branch .LBB75_30
.LBB75_33:                              ;   in Loop: Header=BB75_3 Depth=1
	s_delay_alu instid0(VALU_DEP_1) | instskip(SKIP_2) | instid1(VALU_DEP_2)
	v_dual_ashrrev_i32 v11, 31, v10 :: v_dual_ashrrev_i32 v9, 31, v8
	v_mul_u64_e32 v[4:5], s[36:37], v[4:5]
	s_and_not1_b32 vcc_lo, exec_lo, s83
	v_mul_u64_e32 v[10:11], s[42:43], v[10:11]
	s_delay_alu instid0(VALU_DEP_3) | instskip(NEXT) | instid1(VALU_DEP_2)
	v_mul_u64_e32 v[8:9], s[40:41], v[8:9]
	v_lshl_add_u64 v[10:11], v[10:11], 2, s[4:5]
	s_delay_alu instid0(VALU_DEP_1) | instskip(NEXT) | instid1(VALU_DEP_1)
	v_lshl_add_u64 v[8:9], v[8:9], 2, v[10:11]
	v_lshl_add_u64 v[4:5], v[4:5], 2, v[8:9]
	s_cbranch_vccnz .LBB75_2
; %bb.34:                               ;   in Loop: Header=BB75_3 Depth=1
	global_load_b32 v1, v[4:5], off
	s_wait_loadcnt 0x0
	v_cvt_f64_f32_e32 v[8:9], v1
	s_delay_alu instid0(VALU_DEP_1) | instskip(NEXT) | instid1(VALU_DEP_1)
	v_mul_f64_e32 v[8:9], s[26:27], v[8:9]
	v_fmac_f64_e32 v[8:9], s[24:25], v[6:7]
	s_delay_alu instid0(VALU_DEP_1)
	v_mov_b64_e32 v[6:7], v[8:9]
	s_branch .LBB75_2
.LBB75_35:
	s_endpgm
	.section	.rodata,"a",@progbits
	.p2align	6, 0x0
	.amdhsa_kernel naive_conv_ab_nonpacked_bwd_ndhwc_float_double_float
		.amdhsa_group_segment_fixed_size 0
		.amdhsa_private_segment_fixed_size 0
		.amdhsa_kernarg_size 528
		.amdhsa_user_sgpr_count 2
		.amdhsa_user_sgpr_dispatch_ptr 0
		.amdhsa_user_sgpr_queue_ptr 0
		.amdhsa_user_sgpr_kernarg_segment_ptr 1
		.amdhsa_user_sgpr_dispatch_id 0
		.amdhsa_user_sgpr_kernarg_preload_length 0
		.amdhsa_user_sgpr_kernarg_preload_offset 0
		.amdhsa_user_sgpr_private_segment_size 0
		.amdhsa_wavefront_size32 1
		.amdhsa_uses_dynamic_stack 0
		.amdhsa_enable_private_segment 0
		.amdhsa_system_sgpr_workgroup_id_x 1
		.amdhsa_system_sgpr_workgroup_id_y 0
		.amdhsa_system_sgpr_workgroup_id_z 0
		.amdhsa_system_sgpr_workgroup_info 0
		.amdhsa_system_vgpr_workitem_id 0
		.amdhsa_next_free_vgpr 28
		.amdhsa_next_free_sgpr 90
		.amdhsa_named_barrier_count 0
		.amdhsa_reserve_vcc 1
		.amdhsa_float_round_mode_32 0
		.amdhsa_float_round_mode_16_64 0
		.amdhsa_float_denorm_mode_32 3
		.amdhsa_float_denorm_mode_16_64 3
		.amdhsa_fp16_overflow 0
		.amdhsa_memory_ordered 1
		.amdhsa_forward_progress 1
		.amdhsa_inst_pref_size 22
		.amdhsa_round_robin_scheduling 0
		.amdhsa_exception_fp_ieee_invalid_op 0
		.amdhsa_exception_fp_denorm_src 0
		.amdhsa_exception_fp_ieee_div_zero 0
		.amdhsa_exception_fp_ieee_overflow 0
		.amdhsa_exception_fp_ieee_underflow 0
		.amdhsa_exception_fp_ieee_inexact 0
		.amdhsa_exception_int_div_zero 0
	.end_amdhsa_kernel
	.text
.Lfunc_end75:
	.size	naive_conv_ab_nonpacked_bwd_ndhwc_float_double_float, .Lfunc_end75-naive_conv_ab_nonpacked_bwd_ndhwc_float_double_float
                                        ; -- End function
	.set naive_conv_ab_nonpacked_bwd_ndhwc_float_double_float.num_vgpr, 28
	.set naive_conv_ab_nonpacked_bwd_ndhwc_float_double_float.num_agpr, 0
	.set naive_conv_ab_nonpacked_bwd_ndhwc_float_double_float.numbered_sgpr, 90
	.set naive_conv_ab_nonpacked_bwd_ndhwc_float_double_float.num_named_barrier, 0
	.set naive_conv_ab_nonpacked_bwd_ndhwc_float_double_float.private_seg_size, 0
	.set naive_conv_ab_nonpacked_bwd_ndhwc_float_double_float.uses_vcc, 1
	.set naive_conv_ab_nonpacked_bwd_ndhwc_float_double_float.uses_flat_scratch, 0
	.set naive_conv_ab_nonpacked_bwd_ndhwc_float_double_float.has_dyn_sized_stack, 0
	.set naive_conv_ab_nonpacked_bwd_ndhwc_float_double_float.has_recursion, 0
	.set naive_conv_ab_nonpacked_bwd_ndhwc_float_double_float.has_indirect_call, 0
	.section	.AMDGPU.csdata,"",@progbits
; Kernel info:
; codeLenInByte = 2748
; TotalNumSgprs: 92
; NumVgprs: 28
; ScratchSize: 0
; MemoryBound: 0
; FloatMode: 240
; IeeeMode: 1
; LDSByteSize: 0 bytes/workgroup (compile time only)
; SGPRBlocks: 0
; VGPRBlocks: 1
; NumSGPRsForWavesPerEU: 92
; NumVGPRsForWavesPerEU: 28
; NamedBarCnt: 0
; Occupancy: 16
; WaveLimiterHint : 1
; COMPUTE_PGM_RSRC2:SCRATCH_EN: 0
; COMPUTE_PGM_RSRC2:USER_SGPR: 2
; COMPUTE_PGM_RSRC2:TRAP_HANDLER: 0
; COMPUTE_PGM_RSRC2:TGID_X_EN: 1
; COMPUTE_PGM_RSRC2:TGID_Y_EN: 0
; COMPUTE_PGM_RSRC2:TGID_Z_EN: 0
; COMPUTE_PGM_RSRC2:TIDIG_COMP_CNT: 0
	.text
	.protected	naive_conv_ab_packed_bwd_ndhwc_half_double_half ; -- Begin function naive_conv_ab_packed_bwd_ndhwc_half_double_half
	.globl	naive_conv_ab_packed_bwd_ndhwc_half_double_half
	.p2align	8
	.type	naive_conv_ab_packed_bwd_ndhwc_half_double_half,@function
naive_conv_ab_packed_bwd_ndhwc_half_double_half: ; @naive_conv_ab_packed_bwd_ndhwc_half_double_half
; %bb.0:
	s_load_b512 s[4:19], s[0:1], 0xb8
	s_bfe_u32 s2, ttmp6, 0x4000c
	s_and_b32 s3, ttmp6, 15
	s_add_co_i32 s2, s2, 1
	s_getreg_b32 s20, hwreg(HW_REG_IB_STS2, 6, 4)
	s_mul_i32 s2, ttmp9, s2
	s_mov_b32 s26, exec_lo
	s_add_co_i32 s3, s3, s2
	s_cmp_eq_u32 s20, 0
	s_cselect_b32 s20, ttmp9, s3
	s_wait_kmcnt 0x0
	s_abs_i32 s3, s4
	s_mul_i32 s48, s9, s6
	s_cvt_f32_u32 s2, s3
	s_mul_i32 s33, s48, s5
	s_delay_alu instid0(SALU_CYCLE_2) | instskip(SKIP_1) | instid1(TRANS32_DEP_1)
	v_rcp_iflag_f32_e32 v1, s2
	v_nop
	v_readfirstlane_b32 s2, v1
	s_mul_f32 s2, s2, 0x4f7ffffe
	s_delay_alu instid0(SALU_CYCLE_3) | instskip(SKIP_1) | instid1(SALU_CYCLE_2)
	s_cvt_u32_f32 s21, s2
	s_sub_co_i32 s2, 0, s3
	s_mul_i32 s2, s2, s21
	s_delay_alu instid0(SALU_CYCLE_1) | instskip(SKIP_2) | instid1(SALU_CYCLE_1)
	s_mul_hi_u32 s22, s21, s2
	s_abs_i32 s2, s20
	s_add_co_i32 s21, s21, s22
	s_mul_hi_u32 s21, s2, s21
	s_delay_alu instid0(SALU_CYCLE_1) | instskip(SKIP_2) | instid1(SALU_CYCLE_1)
	s_mul_i32 s22, s21, s3
	s_add_co_i32 s23, s21, 1
	s_sub_co_i32 s22, s2, s22
	s_sub_co_i32 s24, s22, s3
	s_cmp_ge_u32 s22, s3
	s_cselect_b32 s21, s23, s21
	s_cselect_b32 s22, s24, s22
	s_add_co_i32 s23, s21, 1
	s_cmp_ge_u32 s22, s3
	s_mul_i32 s22, s7, s4
	s_cselect_b32 s24, s23, s21
	s_abs_i32 s21, s7
	s_abs_i32 s7, s22
	s_cvt_f32_u32 s3, s21
	s_cvt_f32_u32 s23, s7
	s_delay_alu instid0(SALU_CYCLE_2) | instskip(NEXT) | instid1(SALU_CYCLE_2)
	v_rcp_iflag_f32_e32 v1, s3
	v_rcp_iflag_f32_e32 v2, s23
	s_mov_b32 s3, 0
	s_delay_alu instid0(TRANS32_DEP_2) | instskip(NEXT) | instid1(TRANS32_DEP_1)
	v_readfirstlane_b32 s25, v1
	v_readfirstlane_b32 s23, v2
	v_cmpx_gt_i32_e64 s33, v0
	s_cbranch_execz .LBB76_37
; %bb.1:
	s_ashr_i32 s30, s20, 31
	s_ashr_i32 s39, s4, 31
	s_mul_f32 s25, s25, 0x4f7ffffe
	s_xor_b32 s26, s30, s39
	s_mul_f32 s23, s23, 0x4f7ffffe
	s_xor_b32 s24, s24, s26
	s_cvt_u32_f32 s25, s25
	s_sub_co_i32 s29, s24, s26
	s_sub_co_i32 s24, 0, s21
	s_cvt_u32_f32 s23, s23
	s_mul_i32 s24, s24, s25
	s_mov_b32 s27, s3
	s_mul_hi_u32 s26, s25, s24
	s_abs_i32 s24, s29
	s_add_co_i32 s26, s25, s26
	s_mov_b32 s25, s3
	s_sub_co_i32 s28, 0, s7
	s_mul_u64 s[26:27], s[24:25], s[26:27]
	s_mul_i32 s28, s28, s23
	s_ashr_i32 s38, s22, 31
	s_mul_i32 s22, s27, s21
	s_ashr_i32 s31, s29, 31
	s_mul_hi_u32 s25, s23, s28
	s_mul_i32 s29, s29, s4
	s_sub_co_i32 s22, s24, s22
	s_add_co_i32 s28, s23, s25
	s_sub_co_i32 s40, s20, s29
	s_sub_co_i32 s20, s22, s21
	s_cmp_ge_u32 s22, s21
	s_load_b64 s[34:35], s[0:1], 0x108
	s_cselect_b32 s29, s20, s22
	s_mov_b32 s42, s5
	s_sub_co_i32 s36, s29, s21
	s_cmp_ge_u32 s29, s21
	s_load_b256 s[20:27], s[0:1], 0x0
	s_cselect_b32 s36, s36, s29
	s_mov_b32 s29, s3
	s_xor_b32 s41, s36, s31
	s_mul_u64 s[36:37], s[2:3], s[28:29]
	s_sub_co_i32 s54, s41, s31
	s_mul_i32 s28, s37, s7
	s_xor_b32 s41, s30, s38
	s_sub_co_i32 s2, s2, s28
	s_add_co_i32 s36, s37, 1
	s_sub_co_i32 s38, s2, s7
	s_load_b128 s[28:31], s[0:1], 0xf8
	s_cmp_ge_u32 s2, s7
	s_mov_b32 s44, s11
	s_cselect_b32 s36, s36, s37
	s_cselect_b32 s2, s38, s2
	s_add_co_i32 s37, s36, 1
	s_cmp_ge_u32 s2, s7
	s_mov_b32 s38, s4
	s_cselect_b32 s7, s37, s36
	s_wait_kmcnt 0x0
	s_mul_i32 s36, s35, s9
	s_xor_b32 s7, s7, s41
	s_ashr_i32 s55, s54, 31
	s_sub_co_i32 s52, s7, s41
	s_ashr_i32 s43, s5, 31
	s_ashr_i32 s7, s6, 31
	s_mul_u64 s[38:39], s[54:55], s[38:39]
	s_ashr_i32 s37, s36, 31
	s_ashr_i32 s41, s40, 31
	s_mul_u64 s[4:5], s[6:7], s[42:43]
	s_add_nc_u64 s[38:39], s[38:39], s[40:41]
	s_mul_u64 s[42:43], s[4:5], s[36:37]
	s_ashr_i32 s53, s52, 31
	s_ashr_i32 s5, s9, 31
	s_mov_b32 s4, s9
	s_mul_i32 s64, s35, s8
	s_mul_u64 s[38:39], s[42:43], s[38:39]
	s_mul_u64 s[42:43], s[52:53], s[4:5]
	s_lshl_b64 s[50:51], s[38:39], 1
	s_lshl_b64 s[58:59], s[42:43], 1
	s_ashr_i32 s57, s8, 31
	s_ashr_i32 s39, s30, 31
	;; [unrolled: 1-line block ×8, first 2 shown]
	s_cmp_lt_i32 s30, 1
	s_load_b32 s2, s[0:1], 0x11c
	s_cselect_b32 s65, -1, 0
	s_add_co_i32 s19, s40, s19
	s_cmp_gt_i32 s31, 0
	v_cmp_neq_f64_e64 s49, s[24:25], 1.0
	s_cselect_b32 s66, -1, 0
	s_cmp_gt_i32 s34, 0
	v_cmp_neq_f64_e64 s60, s[26:27], 0
	s_cselect_b32 s67, -1, 0
	s_cmp_gt_i32 s8, 0
	s_mov_b32 s42, s10
	s_cselect_b32 s68, -1, 0
	s_abs_i32 s9, s9
	s_abs_i32 s69, s6
	s_cvt_f32_u32 s38, s9
	s_abs_i32 s72, s48
	s_abs_i32 s73, s13
	s_sub_co_i32 s11, 0, s9
	v_rcp_iflag_f32_e32 v1, s38
	s_mov_b32 s38, s30
	s_cvt_f32_u32 s30, s69
	s_wait_kmcnt 0x0
	s_and_b32 s71, s2, 0xffff
	s_mov_b32 s40, s31
	s_sub_co_i32 s31, 0, s69
	s_abs_i32 s74, s14
	v_nop
	v_readfirstlane_b32 s46, v1
	v_rcp_iflag_f32_e32 v1, s30
	s_cvt_f32_u32 s30, s73
	s_ashr_i32 s75, s48, 31
	s_cvt_f32_u32 s48, s74
	s_mul_f32 s10, s46, 0x4f7ffffe
	s_mov_b32 s46, s12
	s_cvt_f32_u32 s12, s72
	v_rcp_iflag_f32_e32 v2, s30
	s_cvt_u32_f32 s2, s10
	v_readfirstlane_b32 s10, v1
	v_rcp_iflag_f32_e32 v1, s12
	s_abs_i32 s76, s15
	s_mul_i32 s11, s11, s2
	s_load_b64 s[0:1], s[0:1], 0x20
	s_mul_f32 s10, s10, 0x4f7ffffe
	s_mul_hi_u32 s11, s2, s11
	s_or_b32 s70, s49, s60
	s_sub_co_i32 s49, 0, s72
	s_cvt_u32_f32 s12, s10
	s_add_co_i32 s10, s2, s11
	v_nop
	v_readfirstlane_b32 s2, v1
	v_rcp_iflag_f32_e32 v1, s48
	s_mul_i32 s31, s31, s12
	s_cvt_f32_u32 s48, s76
	s_mul_hi_u32 s30, s12, s31
	s_mul_f32 s2, s2, 0x4f7ffffe
	s_add_co_i32 s30, s12, s30
	v_readfirstlane_b32 s12, v2
	v_rcp_iflag_f32_e32 v2, s48
	s_cvt_u32_f32 s2, s2
	s_add_nc_u64 s[20:21], s[20:21], s[50:51]
	v_readfirstlane_b32 s51, v1
	s_mul_f32 s12, s12, 0x4f7ffffe
	s_mul_i32 s49, s49, s2
	s_sub_co_i32 s50, 0, s73
	s_mul_hi_u32 s49, s2, s49
	s_cvt_u32_f32 s12, s12
	s_add_co_i32 s48, s2, s49
	s_mov_b32 s56, s8
	s_add_nc_u64 s[20:21], s[20:21], s[58:59]
	s_mul_i32 s50, s50, s12
	s_mul_u64 s[56:57], s[56:57], s[52:53]
	s_mul_hi_u32 s2, s12, s50
	s_mul_f32 s50, s51, 0x4f7ffffe
	v_readfirstlane_b32 s51, v2
	s_add_co_i32 s12, s12, s2
	s_lshl_b64 s[52:53], s[56:57], 1
	s_cvt_u32_f32 s2, s50
	s_mul_u64 s[58:59], s[34:35], s[4:5]
	s_mul_f32 s50, s51, 0x4f7ffffe
	s_sub_co_i32 s51, 0, s74
	s_ashr_i32 s78, s14, 31
	s_mul_i32 s51, s51, s2
	s_cvt_u32_f32 s14, s50
	s_wait_kmcnt 0x0
	s_add_nc_u64 s[52:53], s[0:1], s[52:53]
	s_mul_u64 s[0:1], s[58:59], s[40:41]
	s_mul_hi_u32 s50, s2, s51
	s_sub_co_i32 s51, 0, s76
	s_mul_u64 s[60:61], s[46:47], s[44:45]
	s_mul_u64 s[62:63], s[0:1], s[38:39]
	s_add_co_i32 s50, s2, s50
	s_mul_i32 s2, s51, s14
	s_mul_u64 s[60:61], s[60:61], s[42:43]
	s_mul_u64 s[56:57], s[56:57], s[62:63]
	v_mov_b32_e32 v3, 0
	v_mov_b32_e32 v1, 0x7e00
	s_mul_hi_u32 s2, s14, s2
	s_mul_u64 s[54:55], s[60:61], s[54:55]
	s_lshl_b64 s[56:57], s[56:57], 1
	s_mov_b32 s11, s3
	s_mov_b32 s31, s3
	;; [unrolled: 1-line block ×3, first 2 shown]
	s_ashr_i32 s77, s13, 31
	s_mov_b32 s13, s3
	s_mov_b32 s51, s3
	s_ashr_i32 s79, s15, 31
	s_add_co_i32 s14, s14, s2
	s_mov_b32 s15, s3
	s_lshl_b64 s[54:55], s[54:55], 1
	s_add_nc_u64 s[22:23], s[22:23], s[56:57]
	s_lshl_b64 s[56:57], s[0:1], 1
	s_lshl_b64 s[58:59], s[58:59], 1
	;; [unrolled: 1-line block ×4, first 2 shown]
	s_mov_b32 s35, 0
	s_branch .LBB76_3
.LBB76_2:                               ;   in Loop: Header=BB76_3 Depth=1
	v_add_nc_u32_e32 v0, s71, v0
	s_delay_alu instid0(VALU_DEP_1)
	v_cmp_le_i32_e32 vcc_lo, s33, v0
	s_or_b32 s35, vcc_lo, s35
	s_wait_xcnt 0x0
	s_and_not1_b32 exec_lo, exec_lo, s35
	s_cbranch_execz .LBB76_37
.LBB76_3:                               ; =>This Loop Header: Depth=1
                                        ;     Child Loop BB76_8 Depth 2
                                        ;       Child Loop BB76_17 Depth 3
                                        ;         Child Loop BB76_24 Depth 4
                                        ;           Child Loop BB76_31 Depth 5
	v_sub_nc_u32_e32 v2, 0, v0
	s_mov_b32 s39, -1
	s_delay_alu instid0(VALU_DEP_1) | instskip(NEXT) | instid1(VALU_DEP_1)
	v_dual_ashrrev_i32 v8, 31, v0 :: v_dual_max_i32 v2, v0, v2
	v_mul_u64_e32 v[4:5], s[10:11], v[2:3]
	s_delay_alu instid0(VALU_DEP_1) | instskip(NEXT) | instid1(VALU_DEP_1)
	v_mul_lo_u32 v4, v5, s9
	v_dual_add_nc_u32 v6, 1, v5 :: v_dual_sub_nc_u32 v4, v2, v4
	s_delay_alu instid0(VALU_DEP_1) | instskip(NEXT) | instid1(VALU_DEP_2)
	v_cmp_le_u32_e32 vcc_lo, s9, v4
	v_cndmask_b32_e32 v5, v5, v6, vcc_lo
	v_subrev_nc_u32_e32 v7, s9, v4
	s_delay_alu instid0(VALU_DEP_1) | instskip(NEXT) | instid1(VALU_DEP_1)
	v_dual_add_nc_u32 v6, 1, v5 :: v_dual_cndmask_b32 v4, v4, v7, vcc_lo
	v_cmp_le_u32_e32 vcc_lo, s9, v4
	s_delay_alu instid0(VALU_DEP_2) | instskip(NEXT) | instid1(VALU_DEP_1)
	v_dual_cndmask_b32 v4, v5, v6, vcc_lo :: v_dual_bitop2_b32 v7, s5, v8 bitop3:0x14
	v_xor_b32_e32 v4, v4, v7
	s_delay_alu instid0(VALU_DEP_1) | instskip(NEXT) | instid1(VALU_DEP_1)
	v_dual_sub_nc_u32 v9, v4, v7 :: v_dual_mov_b32 v7, v3
	v_sub_nc_u32_e32 v4, 0, v9
	s_delay_alu instid0(VALU_DEP_1) | instskip(SKIP_1) | instid1(VALU_DEP_2)
	v_max_i32_e32 v6, v9, v4
	v_mul_u64_e32 v[4:5], s[48:49], v[2:3]
	v_mul_u64_e32 v[10:11], s[30:31], v[6:7]
	s_delay_alu instid0(VALU_DEP_2) | instskip(NEXT) | instid1(VALU_DEP_2)
	v_mul_lo_u32 v7, v5, s72
	v_mul_lo_u32 v4, v11, s69
	s_delay_alu instid0(VALU_DEP_1) | instskip(NEXT) | instid1(VALU_DEP_3)
	v_sub_nc_u32_e32 v4, v6, v4
	v_sub_nc_u32_e32 v6, v2, v7
	v_mul_lo_u32 v7, v9, s4
	s_delay_alu instid0(VALU_DEP_3) | instskip(NEXT) | instid1(VALU_DEP_3)
	v_subrev_nc_u32_e32 v2, s69, v4
	v_subrev_nc_u32_e32 v10, s72, v6
	v_cmp_le_u32_e32 vcc_lo, s69, v4
	v_cmp_le_u32_e64 s0, s72, v6
	s_delay_alu instid0(VALU_DEP_4) | instskip(NEXT) | instid1(VALU_DEP_2)
	v_cndmask_b32_e32 v2, v4, v2, vcc_lo
	v_dual_cndmask_b32 v4, v6, v10, s0 :: v_dual_sub_nc_u32 v6, v0, v7
	s_and_not1_b32 vcc_lo, exec_lo, s65
	s_delay_alu instid0(VALU_DEP_2) | instskip(NEXT) | instid1(VALU_DEP_2)
	v_cmp_le_u32_e64 s2, s69, v2
	v_cmp_le_u32_e64 s1, s72, v4
	s_cbranch_vccnz .LBB76_5
; %bb.4:                                ;   in Loop: Header=BB76_3 Depth=1
	v_ashrrev_i32_e32 v7, 31, v6
	s_mov_b32 s39, 0
.LBB76_5:                               ;   in Loop: Header=BB76_3 Depth=1
	v_add_nc_u32_e32 v4, 1, v5
	s_and_not1_b32 vcc_lo, exec_lo, s39
	s_delay_alu instid0(VALU_DEP_1) | instskip(SKIP_1) | instid1(VALU_DEP_1)
	v_dual_ashrrev_i32 v9, 31, v9 :: v_dual_cndmask_b32 v4, v5, v4, s0
	v_subrev_nc_u32_e32 v5, s69, v2
	v_dual_cndmask_b32 v2, v2, v5, s2 :: v_dual_add_nc_u32 v10, 1, v4
	s_delay_alu instid0(VALU_DEP_1) | instskip(NEXT) | instid1(VALU_DEP_2)
	v_xor_b32_e32 v2, v2, v9
	v_dual_cndmask_b32 v4, v4, v10, s1 :: v_dual_bitop2_b32 v11, s75, v8 bitop3:0x14
	s_delay_alu instid0(VALU_DEP_1) | instskip(SKIP_1) | instid1(VALU_DEP_2)
	v_dual_sub_nc_u32 v8, v2, v9 :: v_dual_bitop2_b32 v10, v4, v11 bitop3:0x14
	v_mov_b64_e32 v[4:5], 0
	v_sub_nc_u32_e32 v22, v10, v11
	s_cbranch_vccnz .LBB76_33
; %bb.6:                                ;   in Loop: Header=BB76_3 Depth=1
	s_delay_alu instid0(VALU_DEP_3) | instskip(SKIP_1) | instid1(VALU_DEP_3)
	v_dual_ashrrev_i32 v7, 31, v6 :: v_dual_add_nc_u32 v23, s29, v8
	v_mov_b64_e32 v[4:5], 0
	v_add_nc_u32_e32 v9, s28, v22
	s_mov_b32 s39, 0
	s_delay_alu instid0(VALU_DEP_3)
	v_lshl_add_u64 v[10:11], v[6:7], 1, s[22:23]
	s_branch .LBB76_8
.LBB76_7:                               ;   in Loop: Header=BB76_8 Depth=2
	v_add_nc_u64_e32 v[10:11], s[56:57], v[10:11]
	s_add_co_i32 s39, s39, 1
	s_delay_alu instid0(SALU_CYCLE_1)
	s_cmp_eq_u32 s39, s38
	s_cbranch_scc1 .LBB76_33
.LBB76_8:                               ;   Parent Loop BB76_3 Depth=1
                                        ; =>  This Loop Header: Depth=2
                                        ;       Child Loop BB76_17 Depth 3
                                        ;         Child Loop BB76_24 Depth 4
                                        ;           Child Loop BB76_31 Depth 5
	s_mul_i32 s0, s16, s39
	s_mov_b32 s81, -1
	s_sub_co_i32 s43, s19, s0
	s_mov_b32 s80, 0
	s_cmp_gt_i32 s43, -1
                                        ; implicit-def: $sgpr2
                                        ; implicit-def: $sgpr1
                                        ; implicit-def: $sgpr0
                                        ; implicit-def: $sgpr41
	s_cbranch_scc1 .LBB76_12
; %bb.9:                                ;   in Loop: Header=BB76_8 Depth=2
	s_and_not1_b32 vcc_lo, exec_lo, s81
	s_cbranch_vccz .LBB76_13
.LBB76_10:                              ;   in Loop: Header=BB76_8 Depth=2
	s_and_not1_b32 vcc_lo, exec_lo, s80
	s_mov_b32 s43, 1
	s_cbranch_vccz .LBB76_14
; %bb.11:                               ;   in Loop: Header=BB76_8 Depth=2
	s_and_not1_b32 vcc_lo, exec_lo, s66
	s_cbranch_vccz .LBB76_15
	s_branch .LBB76_7
.LBB76_12:                              ;   in Loop: Header=BB76_8 Depth=2
	s_abs_i32 s2, s43
	s_delay_alu instid0(SALU_CYCLE_1) | instskip(NEXT) | instid1(SALU_CYCLE_1)
	s_mul_u64 s[0:1], s[2:3], s[12:13]
	s_mul_i32 s0, s1, s73
	s_delay_alu instid0(SALU_CYCLE_1) | instskip(SKIP_4) | instid1(SALU_CYCLE_1)
	s_sub_co_i32 s0, s2, s0
	s_ashr_i32 s2, s43, 31
	s_sub_co_i32 s41, s0, s73
	s_cmp_ge_u32 s0, s73
	s_cselect_b32 s80, s41, s0
	s_sub_co_i32 s81, s80, s73
	s_cmp_ge_u32 s80, s73
	s_cselect_b32 s80, s81, s80
	s_delay_alu instid0(SALU_CYCLE_1) | instskip(NEXT) | instid1(SALU_CYCLE_1)
	s_xor_b32 s80, s80, s2
	s_sub_co_i32 s80, s80, s2
	s_delay_alu instid0(SALU_CYCLE_1)
	s_cmp_lg_u32 s80, 0
	s_cselect_b32 s80, -1, 0
	s_cbranch_execnz .LBB76_10
.LBB76_13:                              ;   in Loop: Header=BB76_8 Depth=2
	s_abs_i32 s2, s43
	s_delay_alu instid0(SALU_CYCLE_1) | instskip(NEXT) | instid1(SALU_CYCLE_1)
	s_mul_u64 s[0:1], s[2:3], s[12:13]
	s_mul_i32 s0, s1, s73
	s_delay_alu instid0(SALU_CYCLE_1)
	s_sub_co_i32 s0, s2, s0
	s_ashr_i32 s2, s43, 31
	s_sub_co_i32 s41, s0, s73
	s_mov_b32 s43, 1
.LBB76_14:                              ;   in Loop: Header=BB76_8 Depth=2
	s_mov_b32 s43, 0
	s_and_not1_b32 vcc_lo, exec_lo, s66
	s_cbranch_vccnz .LBB76_7
.LBB76_15:                              ;   in Loop: Header=BB76_8 Depth=2
	s_xor_b32 s2, s2, s77
	s_add_co_i32 s80, s1, 1
	s_cmp_ge_u32 s0, s73
	v_mov_b64_e32 v[12:13], v[10:11]
	s_cselect_b32 s1, s80, s1
	s_cselect_b32 s0, s41, s0
	s_add_co_i32 s41, s1, 1
	s_cmp_ge_u32 s0, s73
	s_cselect_b32 s0, s41, s1
	s_mov_b32 s41, 0
	s_xor_b32 s0, s0, s2
	s_delay_alu instid0(SALU_CYCLE_1) | instskip(NEXT) | instid1(SALU_CYCLE_1)
	s_sub_co_i32 s0, s0, s2
	s_cmp_lt_i32 s0, s42
	s_cselect_b32 s2, s43, 0
	s_ashr_i32 s1, s0, 31
	s_delay_alu instid0(SALU_CYCLE_1)
	s_mul_u64 s[0:1], s[0:1], s[44:45]
	s_branch .LBB76_17
.LBB76_16:                              ;   in Loop: Header=BB76_17 Depth=3
	v_add_nc_u64_e32 v[12:13], s[58:59], v[12:13]
	s_add_co_i32 s41, s41, 1
	s_delay_alu instid0(SALU_CYCLE_1)
	s_cmp_eq_u32 s41, s40
	s_cbranch_scc1 .LBB76_7
.LBB76_17:                              ;   Parent Loop BB76_3 Depth=1
                                        ;     Parent Loop BB76_8 Depth=2
                                        ; =>    This Loop Header: Depth=3
                                        ;         Child Loop BB76_24 Depth 4
                                        ;           Child Loop BB76_31 Depth 5
	s_mul_i32 s43, s17, s41
	s_mov_b32 s80, exec_lo
	v_subrev_nc_u32_e32 v15, s43, v9
	s_delay_alu instid0(VALU_DEP_1)
	v_cmp_gt_i32_e64 s43, 0, v15
	v_dual_ashrrev_i32 v14, 31, v15 :: v_dual_sub_nc_u32 v16, 0, v15
	v_cmpx_lt_i32_e32 -1, v15
	s_cbranch_execnz .LBB76_20
; %bb.18:                               ;   in Loop: Header=BB76_17 Depth=3
	s_or_b32 exec_lo, exec_lo, s80
	v_mov_b32_e32 v17, 1
	s_and_saveexec_b32 s80, s43
	s_cbranch_execnz .LBB76_21
.LBB76_19:                              ;   in Loop: Header=BB76_17 Depth=3
	s_or_b32 exec_lo, exec_lo, s80
	s_delay_alu instid0(SALU_CYCLE_1)
	s_and_not1_b32 vcc_lo, exec_lo, s67
	s_cbranch_vccz .LBB76_22
	s_branch .LBB76_16
.LBB76_20:                              ;   in Loop: Header=BB76_17 Depth=3
	s_delay_alu instid0(VALU_DEP_2) | instskip(SKIP_1) | instid1(VALU_DEP_1)
	v_max_i32_e32 v2, v15, v16
	s_and_not1_b32 s43, s43, exec_lo
	v_mul_u64_e32 v[18:19], s[50:51], v[2:3]
	s_delay_alu instid0(VALU_DEP_1) | instskip(NEXT) | instid1(VALU_DEP_1)
	v_mul_lo_u32 v17, v19, s74
	v_sub_nc_u32_e32 v2, v2, v17
	s_delay_alu instid0(VALU_DEP_1) | instskip(SKIP_1) | instid1(VALU_DEP_2)
	v_subrev_nc_u32_e32 v17, s74, v2
	v_cmp_le_u32_e32 vcc_lo, s74, v2
	v_cndmask_b32_e32 v2, v2, v17, vcc_lo
	s_delay_alu instid0(VALU_DEP_1) | instskip(SKIP_1) | instid1(VALU_DEP_2)
	v_subrev_nc_u32_e32 v17, s74, v2
	v_cmp_le_u32_e32 vcc_lo, s74, v2
	v_cndmask_b32_e32 v2, v2, v17, vcc_lo
	s_delay_alu instid0(VALU_DEP_1) | instskip(NEXT) | instid1(VALU_DEP_1)
	v_xor_b32_e32 v2, v2, v14
	v_sub_nc_u32_e32 v2, v2, v14
	s_delay_alu instid0(VALU_DEP_1) | instskip(SKIP_1) | instid1(SALU_CYCLE_1)
	v_cmp_ne_u32_e32 vcc_lo, 0, v2
	s_and_b32 s81, vcc_lo, exec_lo
	s_or_b32 s43, s43, s81
	s_or_b32 exec_lo, exec_lo, s80
	v_mov_b32_e32 v17, 1
	s_and_saveexec_b32 s80, s43
	s_cbranch_execz .LBB76_19
.LBB76_21:                              ;   in Loop: Header=BB76_17 Depth=3
	v_mov_b32_e32 v17, 0
	s_or_b32 exec_lo, exec_lo, s80
	s_delay_alu instid0(SALU_CYCLE_1)
	s_and_not1_b32 vcc_lo, exec_lo, s67
	s_cbranch_vccnz .LBB76_16
.LBB76_22:                              ;   in Loop: Header=BB76_17 Depth=3
	v_max_i32_e32 v2, v15, v16
	s_mov_b32 s43, 0
	s_delay_alu instid0(VALU_DEP_1) | instskip(NEXT) | instid1(VALU_DEP_1)
	v_mul_u64_e32 v[18:19], s[50:51], v[2:3]
	v_mul_lo_u32 v15, v19, s74
	s_delay_alu instid0(VALU_DEP_1) | instskip(SKIP_1) | instid1(VALU_DEP_2)
	v_sub_nc_u32_e32 v2, v2, v15
	v_add_nc_u32_e32 v15, 1, v19
	v_cmp_le_u32_e32 vcc_lo, s74, v2
	s_delay_alu instid0(VALU_DEP_2) | instskip(SKIP_1) | instid1(VALU_DEP_1)
	v_cndmask_b32_e32 v15, v19, v15, vcc_lo
	v_subrev_nc_u32_e32 v16, s74, v2
	v_dual_cndmask_b32 v2, v2, v16, vcc_lo :: v_dual_add_nc_u32 v16, 1, v15
	s_delay_alu instid0(VALU_DEP_1) | instskip(NEXT) | instid1(VALU_DEP_2)
	v_cmp_le_u32_e32 vcc_lo, s74, v2
	v_dual_cndmask_b32 v2, v15, v16, vcc_lo :: v_dual_bitop2_b32 v14, s78, v14 bitop3:0x14
	s_delay_alu instid0(VALU_DEP_1) | instskip(NEXT) | instid1(VALU_DEP_1)
	v_xor_b32_e32 v2, v2, v14
	v_sub_nc_u32_e32 v18, v2, v14
	s_delay_alu instid0(VALU_DEP_1) | instskip(SKIP_2) | instid1(VALU_DEP_2)
	v_cmp_gt_i32_e32 vcc_lo, s44, v18
	v_dual_cndmask_b32 v2, 0, v17 :: v_dual_ashrrev_i32 v19, 31, v18
	v_mov_b64_e32 v[16:17], v[12:13]
	v_and_b32_e32 v24, s2, v2
	s_delay_alu instid0(VALU_DEP_3) | instskip(NEXT) | instid1(VALU_DEP_1)
	v_add_nc_u64_e32 v[14:15], s[0:1], v[18:19]
	v_mul_u64_e32 v[14:15], s[46:47], v[14:15]
	s_branch .LBB76_24
.LBB76_23:                              ;   in Loop: Header=BB76_24 Depth=4
	v_add_nc_u64_e32 v[16:17], s[60:61], v[16:17]
	s_add_co_i32 s43, s43, 1
	s_delay_alu instid0(SALU_CYCLE_1)
	s_cmp_eq_u32 s43, s34
	s_cbranch_scc1 .LBB76_16
.LBB76_24:                              ;   Parent Loop BB76_3 Depth=1
                                        ;     Parent Loop BB76_8 Depth=2
                                        ;       Parent Loop BB76_17 Depth=3
                                        ; =>      This Loop Header: Depth=4
                                        ;           Child Loop BB76_31 Depth 5
	s_mul_i32 s80, s18, s43
	s_delay_alu instid0(SALU_CYCLE_1) | instskip(NEXT) | instid1(VALU_DEP_1)
	v_subrev_nc_u32_e32 v2, s80, v23
	v_dual_sub_nc_u32 v19, 0, v2 :: v_dual_ashrrev_i32 v18, 31, v2
	v_cmp_gt_i32_e64 s80, 0, v2
	v_cmp_lt_i32_e32 vcc_lo, -1, v2
	s_delay_alu instid0(VALU_DEP_3)
	v_max_i32_e32 v2, v2, v19
	s_and_saveexec_b32 s81, vcc_lo
	s_cbranch_execnz .LBB76_27
; %bb.25:                               ;   in Loop: Header=BB76_24 Depth=4
	s_or_b32 exec_lo, exec_lo, s81
	v_mov_b32_e32 v20, 1
	s_and_saveexec_b32 s81, s80
	s_cbranch_execnz .LBB76_28
.LBB76_26:                              ;   in Loop: Header=BB76_24 Depth=4
	s_or_b32 exec_lo, exec_lo, s81
	s_delay_alu instid0(SALU_CYCLE_1)
	s_and_not1_b32 vcc_lo, exec_lo, s68
	s_cbranch_vccz .LBB76_29
	s_branch .LBB76_23
.LBB76_27:                              ;   in Loop: Header=BB76_24 Depth=4
	s_delay_alu instid0(VALU_DEP_1) | instskip(SKIP_1) | instid1(VALU_DEP_1)
	v_mul_u64_e32 v[20:21], s[14:15], v[2:3]
	s_and_not1_b32 s80, s80, exec_lo
	v_mul_lo_u32 v19, v21, s76
	s_delay_alu instid0(VALU_DEP_1) | instskip(NEXT) | instid1(VALU_DEP_1)
	v_sub_nc_u32_e32 v19, v2, v19
	v_subrev_nc_u32_e32 v20, s76, v19
	v_cmp_le_u32_e32 vcc_lo, s76, v19
	s_delay_alu instid0(VALU_DEP_2) | instskip(NEXT) | instid1(VALU_DEP_1)
	v_cndmask_b32_e32 v19, v19, v20, vcc_lo
	v_subrev_nc_u32_e32 v20, s76, v19
	v_cmp_le_u32_e32 vcc_lo, s76, v19
	s_delay_alu instid0(VALU_DEP_2) | instskip(NEXT) | instid1(VALU_DEP_1)
	v_cndmask_b32_e32 v19, v19, v20, vcc_lo
	v_xor_b32_e32 v19, v19, v18
	s_delay_alu instid0(VALU_DEP_1) | instskip(NEXT) | instid1(VALU_DEP_1)
	v_sub_nc_u32_e32 v19, v19, v18
	v_cmp_ne_u32_e32 vcc_lo, 0, v19
	s_and_b32 s82, vcc_lo, exec_lo
	s_delay_alu instid0(SALU_CYCLE_1)
	s_or_b32 s80, s80, s82
	s_or_b32 exec_lo, exec_lo, s81
	v_mov_b32_e32 v20, 1
	s_and_saveexec_b32 s81, s80
	s_cbranch_execz .LBB76_26
.LBB76_28:                              ;   in Loop: Header=BB76_24 Depth=4
	v_mov_b32_e32 v20, 0
	s_or_b32 exec_lo, exec_lo, s81
	s_delay_alu instid0(SALU_CYCLE_1)
	s_and_not1_b32 vcc_lo, exec_lo, s68
	s_cbranch_vccnz .LBB76_23
.LBB76_29:                              ;   in Loop: Header=BB76_24 Depth=4
	v_mul_u64_e32 v[26:27], s[14:15], v[2:3]
	s_mov_b32 s80, s8
	v_xor_b32_e32 v18, s79, v18
	s_delay_alu instid0(VALU_DEP_2) | instskip(NEXT) | instid1(VALU_DEP_1)
	v_mul_lo_u32 v19, v27, s76
	v_sub_nc_u32_e32 v2, v2, v19
	s_delay_alu instid0(VALU_DEP_1) | instskip(SKIP_1) | instid1(VALU_DEP_1)
	v_cmp_le_u32_e32 vcc_lo, s76, v2
	v_add_nc_u32_e32 v19, 1, v27
	v_cndmask_b32_e32 v19, v27, v19, vcc_lo
	v_subrev_nc_u32_e32 v21, s76, v2
	s_delay_alu instid0(VALU_DEP_1) | instskip(NEXT) | instid1(VALU_DEP_1)
	v_dual_cndmask_b32 v2, v2, v21 :: v_dual_add_nc_u32 v21, 1, v19
	v_cmp_le_u32_e32 vcc_lo, s76, v2
	s_delay_alu instid0(VALU_DEP_2) | instskip(NEXT) | instid1(VALU_DEP_1)
	v_cndmask_b32_e32 v2, v19, v21, vcc_lo
	v_xor_b32_e32 v2, v2, v18
	s_delay_alu instid0(VALU_DEP_1) | instskip(NEXT) | instid1(VALU_DEP_1)
	v_sub_nc_u32_e32 v26, v2, v18
	v_cmp_gt_i32_e32 vcc_lo, s46, v26
	v_dual_cndmask_b32 v2, 0, v20 :: v_dual_ashrrev_i32 v27, 31, v26
	v_mov_b64_e32 v[20:21], v[16:17]
	s_delay_alu instid0(VALU_DEP_2) | instskip(NEXT) | instid1(VALU_DEP_3)
	v_and_b32_e32 v2, v24, v2
	v_add_nc_u64_e32 v[18:19], v[14:15], v[26:27]
	s_delay_alu instid0(VALU_DEP_2) | instskip(NEXT) | instid1(VALU_DEP_2)
	v_and_b32_e32 v2, 1, v2
	v_lshl_add_u64 v[28:29], v[18:19], 1, s[54:55]
	s_delay_alu instid0(VALU_DEP_2) | instskip(NEXT) | instid1(VALU_DEP_2)
	v_cmp_eq_u32_e32 vcc_lo, 1, v2
	v_mad_nc_u64_u32 v[18:19], s64, v28, s[52:53]
	s_delay_alu instid0(VALU_DEP_1) | instskip(NEXT) | instid1(VALU_DEP_1)
	v_mad_u32 v19, s7, v28, v19
	v_mad_u32 v19, s64, v29, v19
	s_branch .LBB76_31
.LBB76_30:                              ;   in Loop: Header=BB76_31 Depth=5
	s_wait_xcnt 0x0
	s_or_b32 exec_lo, exec_lo, s81
	s_delay_alu instid0(VALU_DEP_1) | instskip(SKIP_2) | instid1(SALU_CYCLE_1)
	v_add_nc_u64_e32 v[18:19], 2, v[18:19]
	v_add_nc_u64_e32 v[20:21], s[62:63], v[20:21]
	s_add_co_i32 s80, s80, -1
	s_cmp_eq_u32 s80, 0
	s_cbranch_scc1 .LBB76_23
.LBB76_31:                              ;   Parent Loop BB76_3 Depth=1
                                        ;     Parent Loop BB76_8 Depth=2
                                        ;       Parent Loop BB76_17 Depth=3
                                        ;         Parent Loop BB76_24 Depth=4
                                        ; =>        This Inner Loop Header: Depth=5
	s_and_saveexec_b32 s81, vcc_lo
	s_cbranch_execz .LBB76_30
; %bb.32:                               ;   in Loop: Header=BB76_31 Depth=5
	global_load_u16 v2, v[18:19], off
	global_load_u16 v25, v[20:21], off
	s_wait_loadcnt 0x1
	v_cvt_f32_f16_e32 v2, v2
	s_wait_loadcnt 0x0
	v_cvt_f32_f16_e32 v25, v25
	s_delay_alu instid0(VALU_DEP_2) | instskip(NEXT) | instid1(VALU_DEP_2)
	v_cvt_f64_f32_e32 v[26:27], v2
	v_cvt_f64_f32_e32 v[28:29], v25
	s_delay_alu instid0(VALU_DEP_1)
	v_fmac_f64_e32 v[4:5], v[26:27], v[28:29]
	s_branch .LBB76_30
.LBB76_33:                              ;   in Loop: Header=BB76_3 Depth=1
	s_delay_alu instid0(VALU_DEP_3) | instskip(SKIP_2) | instid1(VALU_DEP_1)
	v_ashrrev_i32_e32 v9, 31, v8
	s_and_b32 vcc_lo, exec_lo, s70
	s_mov_b32 s0, -1
	v_mad_nc_i64_i32 v[8:9], v22, s6, v[8:9]
	s_delay_alu instid0(VALU_DEP_1) | instskip(NEXT) | instid1(VALU_DEP_1)
	v_mad_nc_u64_u32 v[6:7], v8, s36, v[6:7]
	v_mad_u32 v2, v9, s36, v7
	s_delay_alu instid0(VALU_DEP_1)
	v_mad_u32 v7, v8, s37, v2
	s_cbranch_vccz .LBB76_35
; %bb.34:                               ;   in Loop: Header=BB76_3 Depth=1
	s_delay_alu instid0(VALU_DEP_1) | instskip(SKIP_4) | instid1(VALU_DEP_1)
	v_lshl_add_u64 v[8:9], v[6:7], 1, s[20:21]
	s_mov_b32 s0, 0
	global_load_u16 v2, v[8:9], off
	s_wait_loadcnt 0x0
	v_cvt_f32_f16_e32 v2, v2
	v_cvt_f64_f32_e32 v[10:11], v2
	s_delay_alu instid0(VALU_DEP_1) | instskip(NEXT) | instid1(VALU_DEP_1)
	v_mul_f64_e32 v[10:11], s[26:27], v[10:11]
	v_fmac_f64_e32 v[10:11], s[24:25], v[4:5]
	s_delay_alu instid0(VALU_DEP_1) | instskip(SKIP_2) | instid1(VALU_DEP_3)
	v_and_or_b32 v2, 0x1ff, v11, v10
	v_lshrrev_b32_e32 v10, 8, v11
	v_bfe_u32 v12, v11, 20, 11
	v_cmp_ne_u32_e32 vcc_lo, 0, v2
	s_delay_alu instid0(VALU_DEP_2) | instskip(SKIP_2) | instid1(VALU_DEP_1)
	v_sub_nc_u32_e32 v13, 0x3f1, v12
	v_add_nc_u32_e32 v12, 0xfffffc10, v12
	v_cndmask_b32_e64 v2, 0, 1, vcc_lo
	v_and_or_b32 v2, 0xffe, v10, v2
	s_delay_alu instid0(VALU_DEP_4) | instskip(NEXT) | instid1(VALU_DEP_2)
	v_med3_i32 v10, v13, 0, 13
	v_or_b32_e32 v13, 0x1000, v2
	s_delay_alu instid0(VALU_DEP_1) | instskip(NEXT) | instid1(VALU_DEP_1)
	v_lshrrev_b32_e32 v14, v10, v13
	v_lshlrev_b32_e32 v10, v10, v14
	s_delay_alu instid0(VALU_DEP_1) | instskip(SKIP_3) | instid1(VALU_DEP_2)
	v_cmp_ne_u32_e32 vcc_lo, v10, v13
	v_lshl_or_b32 v13, v12, 12, v2
	v_cndmask_b32_e64 v10, 0, 1, vcc_lo
	v_cmp_gt_i32_e32 vcc_lo, 1, v12
	v_or_b32_e32 v10, v14, v10
	s_delay_alu instid0(VALU_DEP_1) | instskip(NEXT) | instid1(VALU_DEP_1)
	v_cndmask_b32_e32 v10, v13, v10, vcc_lo
	v_dual_lshrrev_b32 v10, 2, v10 :: v_dual_bitop2_b32 v13, 7, v10 bitop3:0x40
	s_delay_alu instid0(VALU_DEP_1) | instskip(SKIP_4) | instid1(VALU_DEP_2)
	v_cmp_lt_i32_e32 vcc_lo, 5, v13
	v_cndmask_b32_e64 v14, 0, 1, vcc_lo
	v_cmp_eq_u32_e32 vcc_lo, 3, v13
	v_cndmask_b32_e64 v13, 0, 1, vcc_lo
	v_cmp_ne_u32_e32 vcc_lo, 0, v2
	v_or_b32_e32 v13, v13, v14
	v_cndmask_b32_e32 v2, 0x7c00, v1, vcc_lo
	v_cmp_gt_i32_e32 vcc_lo, 31, v12
	s_delay_alu instid0(VALU_DEP_3) | instskip(NEXT) | instid1(VALU_DEP_1)
	v_add_nc_u32_e32 v10, v10, v13
	v_cndmask_b32_e32 v10, 0x7c00, v10, vcc_lo
	v_cmp_eq_u32_e32 vcc_lo, 0x40f, v12
	s_delay_alu instid0(VALU_DEP_2) | instskip(NEXT) | instid1(VALU_DEP_1)
	v_dual_cndmask_b32 v2, v10, v2, vcc_lo :: v_dual_lshrrev_b32 v10, 16, v11
	v_and_or_b32 v2, 0x8000, v10, v2
	global_store_b16 v[8:9], v2, off
.LBB76_35:                              ;   in Loop: Header=BB76_3 Depth=1
	s_and_not1_b32 vcc_lo, exec_lo, s0
	s_cbranch_vccnz .LBB76_2
; %bb.36:                               ;   in Loop: Header=BB76_3 Depth=1
	s_wait_xcnt 0x0
	v_and_or_b32 v2, 0x1ff, v5, v4
	v_lshrrev_b32_e32 v4, 8, v5
	v_bfe_u32 v8, v5, 20, 11
	v_lshrrev_b32_e32 v5, 16, v5
	s_delay_alu instid0(VALU_DEP_4) | instskip(NEXT) | instid1(VALU_DEP_3)
	v_cmp_ne_u32_e32 vcc_lo, 0, v2
	v_sub_nc_u32_e32 v9, 0x3f1, v8
	v_add_nc_u32_e32 v8, 0xfffffc10, v8
	v_cndmask_b32_e64 v2, 0, 1, vcc_lo
	s_delay_alu instid0(VALU_DEP_1) | instskip(NEXT) | instid1(VALU_DEP_4)
	v_and_or_b32 v2, 0xffe, v4, v2
	v_med3_i32 v4, v9, 0, 13
	s_delay_alu instid0(VALU_DEP_2) | instskip(NEXT) | instid1(VALU_DEP_1)
	v_or_b32_e32 v9, 0x1000, v2
	v_lshrrev_b32_e32 v10, v4, v9
	s_delay_alu instid0(VALU_DEP_1) | instskip(NEXT) | instid1(VALU_DEP_1)
	v_lshlrev_b32_e32 v4, v4, v10
	v_cmp_ne_u32_e32 vcc_lo, v4, v9
	v_lshl_or_b32 v9, v8, 12, v2
	v_cndmask_b32_e64 v4, 0, 1, vcc_lo
	v_cmp_gt_i32_e32 vcc_lo, 1, v8
	s_delay_alu instid0(VALU_DEP_2) | instskip(NEXT) | instid1(VALU_DEP_1)
	v_or_b32_e32 v4, v10, v4
	v_cndmask_b32_e32 v4, v9, v4, vcc_lo
	s_delay_alu instid0(VALU_DEP_1) | instskip(NEXT) | instid1(VALU_DEP_1)
	v_dual_lshrrev_b32 v4, 2, v4 :: v_dual_bitop2_b32 v9, 7, v4 bitop3:0x40
	v_cmp_lt_i32_e32 vcc_lo, 5, v9
	v_cndmask_b32_e64 v10, 0, 1, vcc_lo
	v_cmp_eq_u32_e32 vcc_lo, 3, v9
	v_cndmask_b32_e64 v9, 0, 1, vcc_lo
	v_cmp_ne_u32_e32 vcc_lo, 0, v2
	s_delay_alu instid0(VALU_DEP_2) | instskip(SKIP_2) | instid1(VALU_DEP_3)
	v_or_b32_e32 v9, v9, v10
	v_cndmask_b32_e32 v2, 0x7c00, v1, vcc_lo
	v_cmp_gt_i32_e32 vcc_lo, 31, v8
	v_add_nc_u32_e32 v4, v4, v9
	s_delay_alu instid0(VALU_DEP_1) | instskip(SKIP_1) | instid1(VALU_DEP_2)
	v_cndmask_b32_e32 v4, 0x7c00, v4, vcc_lo
	v_cmp_eq_u32_e32 vcc_lo, 0x40f, v8
	v_cndmask_b32_e32 v2, v4, v2, vcc_lo
	s_delay_alu instid0(VALU_DEP_1)
	v_and_or_b32 v2, 0x8000, v5, v2
	v_lshl_add_u64 v[4:5], v[6:7], 1, s[20:21]
	global_store_b16 v[4:5], v2, off
	s_branch .LBB76_2
.LBB76_37:
	s_endpgm
	.section	.rodata,"a",@progbits
	.p2align	6, 0x0
	.amdhsa_kernel naive_conv_ab_packed_bwd_ndhwc_half_double_half
		.amdhsa_group_segment_fixed_size 0
		.amdhsa_private_segment_fixed_size 0
		.amdhsa_kernarg_size 528
		.amdhsa_user_sgpr_count 2
		.amdhsa_user_sgpr_dispatch_ptr 0
		.amdhsa_user_sgpr_queue_ptr 0
		.amdhsa_user_sgpr_kernarg_segment_ptr 1
		.amdhsa_user_sgpr_dispatch_id 0
		.amdhsa_user_sgpr_kernarg_preload_length 0
		.amdhsa_user_sgpr_kernarg_preload_offset 0
		.amdhsa_user_sgpr_private_segment_size 0
		.amdhsa_wavefront_size32 1
		.amdhsa_uses_dynamic_stack 0
		.amdhsa_enable_private_segment 0
		.amdhsa_system_sgpr_workgroup_id_x 1
		.amdhsa_system_sgpr_workgroup_id_y 0
		.amdhsa_system_sgpr_workgroup_id_z 0
		.amdhsa_system_sgpr_workgroup_info 0
		.amdhsa_system_vgpr_workitem_id 0
		.amdhsa_next_free_vgpr 30
		.amdhsa_next_free_sgpr 83
		.amdhsa_named_barrier_count 0
		.amdhsa_reserve_vcc 1
		.amdhsa_float_round_mode_32 0
		.amdhsa_float_round_mode_16_64 0
		.amdhsa_float_denorm_mode_32 3
		.amdhsa_float_denorm_mode_16_64 3
		.amdhsa_fp16_overflow 0
		.amdhsa_memory_ordered 1
		.amdhsa_forward_progress 1
		.amdhsa_inst_pref_size 27
		.amdhsa_round_robin_scheduling 0
		.amdhsa_exception_fp_ieee_invalid_op 0
		.amdhsa_exception_fp_denorm_src 0
		.amdhsa_exception_fp_ieee_div_zero 0
		.amdhsa_exception_fp_ieee_overflow 0
		.amdhsa_exception_fp_ieee_underflow 0
		.amdhsa_exception_fp_ieee_inexact 0
		.amdhsa_exception_int_div_zero 0
	.end_amdhsa_kernel
	.text
.Lfunc_end76:
	.size	naive_conv_ab_packed_bwd_ndhwc_half_double_half, .Lfunc_end76-naive_conv_ab_packed_bwd_ndhwc_half_double_half
                                        ; -- End function
	.set naive_conv_ab_packed_bwd_ndhwc_half_double_half.num_vgpr, 30
	.set naive_conv_ab_packed_bwd_ndhwc_half_double_half.num_agpr, 0
	.set naive_conv_ab_packed_bwd_ndhwc_half_double_half.numbered_sgpr, 83
	.set naive_conv_ab_packed_bwd_ndhwc_half_double_half.num_named_barrier, 0
	.set naive_conv_ab_packed_bwd_ndhwc_half_double_half.private_seg_size, 0
	.set naive_conv_ab_packed_bwd_ndhwc_half_double_half.uses_vcc, 1
	.set naive_conv_ab_packed_bwd_ndhwc_half_double_half.uses_flat_scratch, 0
	.set naive_conv_ab_packed_bwd_ndhwc_half_double_half.has_dyn_sized_stack, 0
	.set naive_conv_ab_packed_bwd_ndhwc_half_double_half.has_recursion, 0
	.set naive_conv_ab_packed_bwd_ndhwc_half_double_half.has_indirect_call, 0
	.section	.AMDGPU.csdata,"",@progbits
; Kernel info:
; codeLenInByte = 3344
; TotalNumSgprs: 85
; NumVgprs: 30
; ScratchSize: 0
; MemoryBound: 0
; FloatMode: 240
; IeeeMode: 1
; LDSByteSize: 0 bytes/workgroup (compile time only)
; SGPRBlocks: 0
; VGPRBlocks: 1
; NumSGPRsForWavesPerEU: 85
; NumVGPRsForWavesPerEU: 30
; NamedBarCnt: 0
; Occupancy: 16
; WaveLimiterHint : 1
; COMPUTE_PGM_RSRC2:SCRATCH_EN: 0
; COMPUTE_PGM_RSRC2:USER_SGPR: 2
; COMPUTE_PGM_RSRC2:TRAP_HANDLER: 0
; COMPUTE_PGM_RSRC2:TGID_X_EN: 1
; COMPUTE_PGM_RSRC2:TGID_Y_EN: 0
; COMPUTE_PGM_RSRC2:TGID_Z_EN: 0
; COMPUTE_PGM_RSRC2:TIDIG_COMP_CNT: 0
	.text
	.protected	naive_conv_ab_nonpacked_bwd_ndhwc_half_double_half ; -- Begin function naive_conv_ab_nonpacked_bwd_ndhwc_half_double_half
	.globl	naive_conv_ab_nonpacked_bwd_ndhwc_half_double_half
	.p2align	8
	.type	naive_conv_ab_nonpacked_bwd_ndhwc_half_double_half,@function
naive_conv_ab_nonpacked_bwd_ndhwc_half_double_half: ; @naive_conv_ab_nonpacked_bwd_ndhwc_half_double_half
; %bb.0:
	s_load_b512 s[4:19], s[0:1], 0xb8
	s_bfe_u32 s2, ttmp6, 0x4000c
	s_and_b32 s3, ttmp6, 15
	s_add_co_i32 s2, s2, 1
	s_getreg_b32 s20, hwreg(HW_REG_IB_STS2, 6, 4)
	s_mul_i32 s2, ttmp9, s2
	s_mov_b32 s25, exec_lo
	s_add_co_i32 s3, s3, s2
	s_cmp_eq_u32 s20, 0
	s_cselect_b32 s20, ttmp9, s3
	s_wait_kmcnt 0x0
	s_abs_i32 s3, s4
	s_mul_i32 s85, s9, s6
	s_cvt_f32_u32 s2, s3
	s_mul_i32 s33, s85, s5
	s_delay_alu instid0(SALU_CYCLE_2) | instskip(SKIP_1) | instid1(TRANS32_DEP_1)
	v_rcp_iflag_f32_e32 v1, s2
	v_nop
	v_readfirstlane_b32 s2, v1
	s_mul_f32 s2, s2, 0x4f7ffffe
	s_delay_alu instid0(SALU_CYCLE_3) | instskip(SKIP_1) | instid1(SALU_CYCLE_2)
	s_cvt_u32_f32 s21, s2
	s_sub_co_i32 s2, 0, s3
	s_mul_i32 s2, s2, s21
	s_delay_alu instid0(SALU_CYCLE_1) | instskip(SKIP_2) | instid1(SALU_CYCLE_1)
	s_mul_hi_u32 s22, s21, s2
	s_abs_i32 s2, s20
	s_add_co_i32 s21, s21, s22
	s_mul_hi_u32 s21, s2, s21
	s_delay_alu instid0(SALU_CYCLE_1) | instskip(SKIP_2) | instid1(SALU_CYCLE_1)
	s_mul_i32 s22, s21, s3
	s_add_co_i32 s23, s21, 1
	s_sub_co_i32 s22, s2, s22
	s_sub_co_i32 s24, s22, s3
	s_cmp_ge_u32 s22, s3
	s_cselect_b32 s21, s23, s21
	s_cselect_b32 s22, s24, s22
	s_add_co_i32 s23, s21, 1
	s_cmp_ge_u32 s22, s3
	s_mul_i32 s22, s7, s4
	s_cselect_b32 s23, s23, s21
	s_abs_i32 s21, s7
	s_abs_i32 s7, s22
	s_cvt_f32_u32 s3, s21
	s_cvt_f32_u32 s24, s7
	s_delay_alu instid0(SALU_CYCLE_2) | instskip(NEXT) | instid1(SALU_CYCLE_2)
	v_rcp_iflag_f32_e32 v1, s3
	v_rcp_iflag_f32_e32 v2, s24
	s_mov_b32 s3, 0
	v_nop
	s_delay_alu instid0(TRANS32_DEP_2) | instskip(NEXT) | instid1(TRANS32_DEP_1)
	v_readfirstlane_b32 s24, v1
	v_readfirstlane_b32 s5, v2
	v_cmpx_gt_i32_e64 s33, v0
	s_cbranch_execz .LBB77_37
; %bb.1:
	s_mul_f32 s24, s24, 0x4f7ffffe
	s_ashr_i32 s52, s20, 31
	s_ashr_i32 s25, s4, 31
	s_mul_f32 s5, s5, 0x4f7ffffe
	s_cvt_u32_f32 s26, s24
	s_xor_b32 s25, s52, s25
	s_sub_co_i32 s24, 0, s21
	s_xor_b32 s23, s23, s25
	s_mul_i32 s24, s24, s26
	s_cvt_u32_f32 s5, s5
	s_sub_co_i32 s23, s23, s25
	s_mul_hi_u32 s25, s26, s24
	s_sub_co_i32 s28, 0, s7
	s_abs_i32 s24, s23
	s_add_co_i32 s26, s26, s25
	s_mov_b32 s25, s3
	s_mov_b32 s27, s3
	s_mul_i32 s28, s28, s5
	s_mul_u64 s[26:27], s[24:25], s[26:27]
	s_mul_hi_u32 s25, s5, s28
	s_ashr_i32 s26, s22, 31
	s_add_co_i32 s22, s5, s25
	s_mul_i32 s5, s27, s21
	s_ashr_i32 s53, s23, 31
	s_mul_i32 s23, s23, s4
	s_sub_co_i32 s5, s24, s5
	s_sub_co_i32 s4, s20, s23
	;; [unrolled: 1-line block ×3, first 2 shown]
	s_cmp_ge_u32 s5, s21
	s_mov_b32 s23, s3
	s_cselect_b32 s5, s20, s5
	s_mul_u64 s[34:35], s[2:3], s[22:23]
	s_sub_co_i32 s20, s5, s21
	s_cmp_ge_u32 s5, s21
	s_load_b512 s[36:51], s[0:1], 0x28
	s_cselect_b32 s5, s20, s5
	s_xor_b32 s34, s52, s26
	s_xor_b32 s5, s5, s53
	s_load_b256 s[20:27], s[0:1], 0x0
	s_sub_co_i32 s72, s5, s53
	s_mul_i32 s5, s35, s7
	s_clause 0x1
	s_load_b128 s[28:31], s[0:1], 0xf8
	s_load_b128 s[68:71], s[0:1], 0xa8
	s_sub_co_i32 s2, s2, s5
	s_add_co_i32 s5, s35, 1
	s_sub_co_i32 s52, s2, s7
	s_cmp_ge_u32 s2, s7
	s_clause 0x1
	s_load_b32 s76, s[0:1], 0x108
	s_load_b32 s86, s[0:1], 0x11c
	s_cselect_b32 s5, s5, s35
	s_cselect_b32 s2, s52, s2
	s_add_co_i32 s35, s5, 1
	s_cmp_ge_u32 s2, s7
	s_load_b512 s[52:67], s[0:1], 0x68
	s_cselect_b32 s2, s35, s5
	s_ashr_i32 s73, s72, 31
	s_xor_b32 s2, s2, s34
	s_ashr_i32 s5, s4, 31
	s_sub_co_i32 s74, s2, s34
	s_wait_kmcnt 0x0
	v_cmp_neq_f64_e64 s2, s[24:25], 1.0
	s_ashr_i32 s75, s74, 31
	v_cmp_neq_f64_e64 s7, s[26:27], 0
	s_mul_u64 s[34:35], s[46:47], s[72:73]
	s_mul_u64 s[44:45], s[44:45], s[4:5]
	;; [unrolled: 1-line block ×3, first 2 shown]
	s_lshl_b64 s[34:35], s[34:35], 1
	s_lshl_b64 s[44:45], s[44:45], 1
	;; [unrolled: 1-line block ×3, first 2 shown]
	s_cmp_lt_i32 s30, 1
	s_load_b64 s[0:1], s[0:1], 0x20
	s_cselect_b32 s77, -1, 0
	s_add_co_i32 s19, s4, s19
	s_cmp_gt_i32 s31, 0
	s_mul_u64 s[88:89], s[58:59], s[74:75]
	s_cselect_b32 s78, -1, 0
	s_cmp_gt_i32 s76, 0
	s_mul_u64 s[62:63], s[62:63], s[74:75]
	s_cselect_b32 s79, -1, 0
	s_cmp_gt_i32 s8, 0
	v_mov_b32_e32 v3, 0
	s_cselect_b32 s80, -1, 0
	s_abs_i32 s81, s9
	s_abs_i32 s82, s6
	s_cvt_f32_u32 s4, s81
	s_cvt_f32_u32 s6, s82
	s_abs_i32 s84, s85
	s_abs_i32 s74, s13
	v_rcp_iflag_f32_e32 v1, s4
	v_rcp_iflag_f32_e32 v2, s6
	s_add_nc_u64 s[4:5], s[20:21], s[34:35]
	s_lshl_b64 s[20:21], s[52:53], 1
	s_cvt_f32_u32 s52, s84
	s_lshl_b64 s[34:35], s[56:57], 1
	s_or_b32 s83, s2, s7
	v_nop
	v_readfirstlane_b32 s6, v1
	v_rcp_iflag_f32_e32 v1, s52
	v_readfirstlane_b32 s87, v2
	s_cvt_f32_u32 s56, s74
	s_sub_co_i32 s53, 0, s81
	s_mul_f32 s2, s6, 0x4f7ffffe
	s_lshl_b64 s[6:7], s[54:55], 1
	s_mul_f32 s52, s87, 0x4f7ffffe
	v_readfirstlane_b32 s55, v1
	s_cvt_u32_f32 s2, s2
	v_rcp_iflag_f32_e32 v1, s56
	s_cvt_u32_f32 s54, s52
	s_sub_co_i32 s57, 0, s82
	s_mul_i32 s53, s53, s2
	s_abs_i32 s75, s14
	s_mul_hi_u32 s53, s2, s53
	s_mul_i32 s57, s57, s54
	s_add_co_i32 s52, s2, s53
	s_mul_f32 s2, s55, 0x4f7ffffe
	v_nop
	v_readfirstlane_b32 s56, v1
	s_mul_hi_u32 s55, s54, s57
	s_cvt_f32_u32 s58, s75
	s_cvt_u32_f32 s2, s2
	s_add_co_i32 s54, s54, s55
	s_sub_co_i32 s55, 0, s84
	s_add_nc_u64 s[4:5], s[4:5], s[44:45]
	s_mul_i32 s57, s55, s2
	s_mul_f32 s59, s56, 0x4f7ffffe
	v_rcp_iflag_f32_e32 v1, s58
	s_add_nc_u64 s[4:5], s[4:5], s[38:39]
	s_lshl_b64 s[38:39], s[66:67], 1
	s_and_b32 s66, s86, 0xffff
	s_mul_hi_u32 s57, s2, s57
	s_abs_i32 s86, s15
	s_add_co_i32 s56, s2, s57
	s_cvt_u32_f32 s2, s59
	s_cvt_f32_u32 s59, s86
	s_lshl_b64 s[46:47], s[60:61], 1
	v_nop
	v_readfirstlane_b32 s60, v1
	s_sub_co_i32 s58, 0, s74
	v_rcp_iflag_f32_e32 v1, s59
	s_lshl_b64 s[44:45], s[64:65], 1
	s_mul_i32 s58, s58, s2
	s_mul_f32 s60, s60, 0x4f7ffffe
	s_mul_hi_u32 s58, s2, s58
	s_sub_co_i32 s65, 0, s75
	s_add_co_i32 s58, s2, s58
	v_nop
	v_readfirstlane_b32 s64, v1
	s_cvt_u32_f32 s2, s60
	s_mul_u64 s[60:61], s[70:71], s[72:73]
	s_lshl_b64 s[62:63], s[62:63], 1
	s_lshl_b64 s[60:61], s[60:61], 1
	s_mul_f32 s64, s64, 0x4f7ffffe
	s_ashr_i32 s70, s14, 31
	s_mul_i32 s65, s65, s2
	s_add_nc_u64 s[62:63], s[62:63], s[60:61]
	s_cvt_u32_f32 s14, s64
	s_mul_hi_u32 s60, s2, s65
	s_sub_co_i32 s61, 0, s86
	s_add_co_i32 s60, s2, s60
	s_mul_i32 s2, s61, s14
	v_mov_b32_e32 v7, 0x7e00
	s_mul_hi_u32 s2, s14, s2
	s_wait_kmcnt 0x0
	s_add_nc_u64 s[62:63], s[0:1], s[62:63]
	s_lshl_b64 s[0:1], s[88:89], 1
	s_ashr_i32 s67, s9, 31
	s_mov_b32 s53, s3
	s_mov_b32 s55, s3
	s_ashr_i32 s85, s85, 31
	s_mov_b32 s57, s3
	s_ashr_i32 s13, s13, 31
	s_mov_b32 s59, s3
	s_mov_b32 s61, s3
	s_ashr_i32 s71, s15, 31
	s_add_co_i32 s14, s14, s2
	s_mov_b32 s15, s3
	s_add_nc_u64 s[22:23], s[22:23], s[0:1]
	s_lshl_b64 s[48:49], s[48:49], 1
	s_lshl_b64 s[50:51], s[50:51], 1
	;; [unrolled: 1-line block ×3, first 2 shown]
	s_mov_b32 s68, 0
	s_branch .LBB77_3
.LBB77_2:                               ;   in Loop: Header=BB77_3 Depth=1
	v_add_nc_u32_e32 v0, s66, v0
	s_delay_alu instid0(VALU_DEP_1)
	v_cmp_le_i32_e32 vcc_lo, s33, v0
	s_or_b32 s68, vcc_lo, s68
	s_wait_xcnt 0x0
	s_and_not1_b32 exec_lo, exec_lo, s68
	s_cbranch_execz .LBB77_37
.LBB77_3:                               ; =>This Loop Header: Depth=1
                                        ;     Child Loop BB77_8 Depth 2
                                        ;       Child Loop BB77_17 Depth 3
                                        ;         Child Loop BB77_24 Depth 4
                                        ;           Child Loop BB77_31 Depth 5
	v_sub_nc_u32_e32 v1, 0, v0
	s_mov_b32 s69, -1
	v_dual_mov_b32 v11, v3 :: v_dual_ashrrev_i32 v8, 31, v0
	s_delay_alu instid0(VALU_DEP_2) | instskip(NEXT) | instid1(VALU_DEP_1)
	v_max_i32_e32 v2, v0, v1
	v_mul_u64_e32 v[4:5], s[52:53], v[2:3]
	s_delay_alu instid0(VALU_DEP_1) | instskip(SKIP_1) | instid1(VALU_DEP_2)
	v_mul_lo_u32 v1, v5, s81
	v_add_nc_u32_e32 v4, 1, v5
	v_sub_nc_u32_e32 v1, v2, v1
	s_delay_alu instid0(VALU_DEP_1) | instskip(SKIP_1) | instid1(VALU_DEP_4)
	v_subrev_nc_u32_e32 v6, s81, v1
	v_cmp_le_u32_e32 vcc_lo, s81, v1
	v_cndmask_b32_e32 v4, v5, v4, vcc_lo
	s_delay_alu instid0(VALU_DEP_1) | instskip(NEXT) | instid1(VALU_DEP_1)
	v_dual_cndmask_b32 v1, v1, v6, vcc_lo :: v_dual_add_nc_u32 v5, 1, v4
	v_cmp_le_u32_e32 vcc_lo, s81, v1
	s_delay_alu instid0(VALU_DEP_2) | instskip(SKIP_1) | instid1(VALU_DEP_2)
	v_dual_cndmask_b32 v1, v4, v5, vcc_lo :: v_dual_bitop2_b32 v6, s67, v8 bitop3:0x14
	v_mul_u64_e32 v[4:5], s[56:57], v[2:3]
	v_xor_b32_e32 v1, v1, v6
	s_delay_alu instid0(VALU_DEP_1) | instskip(NEXT) | instid1(VALU_DEP_3)
	v_sub_nc_u32_e32 v9, v1, v6
	v_mul_lo_u32 v4, v5, s84
	s_delay_alu instid0(VALU_DEP_1) | instskip(NEXT) | instid1(VALU_DEP_1)
	v_dual_sub_nc_u32 v1, 0, v9 :: v_dual_sub_nc_u32 v4, v2, v4
	v_max_i32_e32 v10, v9, v1
	s_delay_alu instid0(VALU_DEP_2) | instskip(NEXT) | instid1(VALU_DEP_2)
	v_cmp_le_u32_e64 s0, s84, v4
	v_mul_u64_e32 v[12:13], s[54:55], v[10:11]
	s_delay_alu instid0(VALU_DEP_1) | instskip(NEXT) | instid1(VALU_DEP_1)
	v_mul_lo_u32 v1, v13, s82
	v_sub_nc_u32_e32 v1, v10, v1
	v_mul_lo_u32 v6, v9, s9
	v_subrev_nc_u32_e32 v10, s84, v4
	s_delay_alu instid0(VALU_DEP_3) | instskip(SKIP_1) | instid1(VALU_DEP_2)
	v_subrev_nc_u32_e32 v2, s82, v1
	v_cmp_le_u32_e32 vcc_lo, s82, v1
	v_cndmask_b32_e32 v2, v1, v2, vcc_lo
	s_delay_alu instid0(VALU_DEP_4) | instskip(SKIP_2) | instid1(VALU_DEP_3)
	v_cndmask_b32_e64 v1, v4, v10, s0
	v_sub_nc_u32_e32 v6, v0, v6
	s_and_not1_b32 vcc_lo, exec_lo, s77
	v_cmp_le_u32_e64 s2, s82, v2
	s_delay_alu instid0(VALU_DEP_3)
	v_cmp_le_u32_e64 s1, s84, v1
                                        ; implicit-def: $vgpr1
	s_cbranch_vccnz .LBB77_5
; %bb.4:                                ;   in Loop: Header=BB77_3 Depth=1
	v_ashrrev_i32_e32 v1, 31, v6
	s_mov_b32 s69, 0
.LBB77_5:                               ;   in Loop: Header=BB77_3 Depth=1
	v_add_nc_u32_e32 v4, 1, v5
	s_and_not1_b32 vcc_lo, exec_lo, s69
	s_delay_alu instid0(VALU_DEP_1) | instskip(SKIP_1) | instid1(VALU_DEP_1)
	v_dual_ashrrev_i32 v9, 31, v9 :: v_dual_cndmask_b32 v4, v5, v4, s0
	v_subrev_nc_u32_e32 v5, s82, v2
	v_dual_cndmask_b32 v2, v2, v5, s2 :: v_dual_add_nc_u32 v10, 1, v4
	s_delay_alu instid0(VALU_DEP_1) | instskip(NEXT) | instid1(VALU_DEP_2)
	v_xor_b32_e32 v2, v2, v9
	v_dual_cndmask_b32 v4, v4, v10, s1 :: v_dual_bitop2_b32 v11, s85, v8 bitop3:0x14
	s_delay_alu instid0(VALU_DEP_1) | instskip(SKIP_1) | instid1(VALU_DEP_2)
	v_dual_sub_nc_u32 v8, v2, v9 :: v_dual_bitop2_b32 v10, v4, v11 bitop3:0x14
	v_mov_b64_e32 v[4:5], 0
	v_sub_nc_u32_e32 v22, v10, v11
	s_cbranch_vccnz .LBB77_33
; %bb.6:                                ;   in Loop: Header=BB77_3 Depth=1
	v_mad_nc_u64_u32 v[10:11], s48, v6, s[22:23]
	v_dual_ashrrev_i32 v1, 31, v6 :: v_dual_add_nc_u32 v23, s29, v8
	v_mov_b64_e32 v[4:5], 0
	v_add_nc_u32_e32 v9, s28, v22
	s_mov_b32 s69, 0
	s_delay_alu instid0(VALU_DEP_4) | instskip(NEXT) | instid1(VALU_DEP_1)
	v_mad_u32 v2, s49, v6, v11
	v_mad_u32 v11, s48, v1, v2
	s_branch .LBB77_8
.LBB77_7:                               ;   in Loop: Header=BB77_8 Depth=2
	v_add_nc_u64_e32 v[10:11], s[6:7], v[10:11]
	s_add_co_i32 s69, s69, 1
	s_delay_alu instid0(SALU_CYCLE_1)
	s_cmp_eq_u32 s69, s30
	s_cbranch_scc1 .LBB77_33
.LBB77_8:                               ;   Parent Loop BB77_3 Depth=1
                                        ; =>  This Loop Header: Depth=2
                                        ;       Child Loop BB77_17 Depth 3
                                        ;         Child Loop BB77_24 Depth 4
                                        ;           Child Loop BB77_31 Depth 5
	s_mul_i32 s0, s16, s69
	s_mov_b32 s88, -1
	s_sub_co_i32 s73, s19, s0
	s_mov_b32 s87, 0
	s_cmp_gt_i32 s73, -1
                                        ; implicit-def: $sgpr2
                                        ; implicit-def: $sgpr1
                                        ; implicit-def: $sgpr0
                                        ; implicit-def: $sgpr72
	s_cbranch_scc1 .LBB77_12
; %bb.9:                                ;   in Loop: Header=BB77_8 Depth=2
	s_and_not1_b32 vcc_lo, exec_lo, s88
	s_cbranch_vccz .LBB77_13
.LBB77_10:                              ;   in Loop: Header=BB77_8 Depth=2
	s_and_not1_b32 vcc_lo, exec_lo, s87
	s_mov_b32 s73, 1
	s_cbranch_vccz .LBB77_14
; %bb.11:                               ;   in Loop: Header=BB77_8 Depth=2
	s_and_not1_b32 vcc_lo, exec_lo, s78
	s_cbranch_vccz .LBB77_15
	s_branch .LBB77_7
.LBB77_12:                              ;   in Loop: Header=BB77_8 Depth=2
	s_abs_i32 s2, s73
	s_delay_alu instid0(SALU_CYCLE_1) | instskip(NEXT) | instid1(SALU_CYCLE_1)
	s_mul_u64 s[0:1], s[2:3], s[58:59]
	s_mul_i32 s0, s1, s74
	s_delay_alu instid0(SALU_CYCLE_1) | instskip(SKIP_4) | instid1(SALU_CYCLE_1)
	s_sub_co_i32 s0, s2, s0
	s_ashr_i32 s2, s73, 31
	s_sub_co_i32 s72, s0, s74
	s_cmp_ge_u32 s0, s74
	s_cselect_b32 s87, s72, s0
	s_sub_co_i32 s88, s87, s74
	s_cmp_ge_u32 s87, s74
	s_cselect_b32 s87, s88, s87
	s_delay_alu instid0(SALU_CYCLE_1) | instskip(NEXT) | instid1(SALU_CYCLE_1)
	s_xor_b32 s87, s87, s2
	s_sub_co_i32 s87, s87, s2
	s_delay_alu instid0(SALU_CYCLE_1)
	s_cmp_lg_u32 s87, 0
	s_cselect_b32 s87, -1, 0
	s_cbranch_execnz .LBB77_10
.LBB77_13:                              ;   in Loop: Header=BB77_8 Depth=2
	s_abs_i32 s2, s73
	s_delay_alu instid0(SALU_CYCLE_1) | instskip(NEXT) | instid1(SALU_CYCLE_1)
	s_mul_u64 s[0:1], s[2:3], s[58:59]
	s_mul_i32 s0, s1, s74
	s_delay_alu instid0(SALU_CYCLE_1)
	s_sub_co_i32 s0, s2, s0
	s_ashr_i32 s2, s73, 31
	s_sub_co_i32 s72, s0, s74
	s_mov_b32 s73, 1
.LBB77_14:                              ;   in Loop: Header=BB77_8 Depth=2
	s_mov_b32 s73, 0
	s_and_not1_b32 vcc_lo, exec_lo, s78
	s_cbranch_vccnz .LBB77_7
.LBB77_15:                              ;   in Loop: Header=BB77_8 Depth=2
	s_xor_b32 s2, s2, s13
	s_add_co_i32 s87, s1, 1
	s_cmp_ge_u32 s0, s74
	v_mov_b64_e32 v[12:13], v[10:11]
	s_cselect_b32 s1, s87, s1
	s_cselect_b32 s0, s72, s0
	s_add_co_i32 s72, s1, 1
	s_cmp_ge_u32 s0, s74
	s_cselect_b32 s0, s72, s1
	s_mov_b32 s72, 0
	s_xor_b32 s0, s0, s2
	s_delay_alu instid0(SALU_CYCLE_1) | instskip(NEXT) | instid1(SALU_CYCLE_1)
	s_sub_co_i32 s0, s0, s2
	s_cmp_lt_i32 s0, s10
	s_cselect_b32 s2, s73, 0
	s_ashr_i32 s1, s0, 31
	s_delay_alu instid0(SALU_CYCLE_1) | instskip(NEXT) | instid1(SALU_CYCLE_1)
	s_mul_u64 s[0:1], s[64:65], s[0:1]
	s_add_nc_u64 s[0:1], s[62:63], s[0:1]
	s_branch .LBB77_17
.LBB77_16:                              ;   in Loop: Header=BB77_17 Depth=3
	v_add_nc_u64_e32 v[12:13], s[20:21], v[12:13]
	s_add_co_i32 s72, s72, 1
	s_delay_alu instid0(SALU_CYCLE_1)
	s_cmp_eq_u32 s72, s31
	s_cbranch_scc1 .LBB77_7
.LBB77_17:                              ;   Parent Loop BB77_3 Depth=1
                                        ;     Parent Loop BB77_8 Depth=2
                                        ; =>    This Loop Header: Depth=3
                                        ;         Child Loop BB77_24 Depth 4
                                        ;           Child Loop BB77_31 Depth 5
	s_mul_i32 s73, s17, s72
	s_mov_b32 s87, exec_lo
	v_subrev_nc_u32_e32 v15, s73, v9
	s_delay_alu instid0(VALU_DEP_1)
	v_cmp_gt_i32_e64 s73, 0, v15
	v_dual_ashrrev_i32 v14, 31, v15 :: v_dual_sub_nc_u32 v16, 0, v15
	v_cmpx_lt_i32_e32 -1, v15
	s_cbranch_execnz .LBB77_20
; %bb.18:                               ;   in Loop: Header=BB77_17 Depth=3
	s_or_b32 exec_lo, exec_lo, s87
	v_mov_b32_e32 v17, 1
	s_and_saveexec_b32 s87, s73
	s_cbranch_execnz .LBB77_21
.LBB77_19:                              ;   in Loop: Header=BB77_17 Depth=3
	s_or_b32 exec_lo, exec_lo, s87
	s_delay_alu instid0(SALU_CYCLE_1)
	s_and_not1_b32 vcc_lo, exec_lo, s79
	s_cbranch_vccz .LBB77_22
	s_branch .LBB77_16
.LBB77_20:                              ;   in Loop: Header=BB77_17 Depth=3
	s_delay_alu instid0(VALU_DEP_2) | instskip(SKIP_1) | instid1(VALU_DEP_1)
	v_max_i32_e32 v2, v15, v16
	s_and_not1_b32 s73, s73, exec_lo
	v_mul_u64_e32 v[18:19], s[60:61], v[2:3]
	s_delay_alu instid0(VALU_DEP_1) | instskip(NEXT) | instid1(VALU_DEP_1)
	v_mul_lo_u32 v17, v19, s75
	v_sub_nc_u32_e32 v2, v2, v17
	s_delay_alu instid0(VALU_DEP_1) | instskip(SKIP_1) | instid1(VALU_DEP_2)
	v_subrev_nc_u32_e32 v17, s75, v2
	v_cmp_le_u32_e32 vcc_lo, s75, v2
	v_cndmask_b32_e32 v2, v2, v17, vcc_lo
	s_delay_alu instid0(VALU_DEP_1) | instskip(SKIP_1) | instid1(VALU_DEP_2)
	v_subrev_nc_u32_e32 v17, s75, v2
	v_cmp_le_u32_e32 vcc_lo, s75, v2
	v_cndmask_b32_e32 v2, v2, v17, vcc_lo
	s_delay_alu instid0(VALU_DEP_1) | instskip(NEXT) | instid1(VALU_DEP_1)
	v_xor_b32_e32 v2, v2, v14
	v_sub_nc_u32_e32 v2, v2, v14
	s_delay_alu instid0(VALU_DEP_1) | instskip(SKIP_1) | instid1(SALU_CYCLE_1)
	v_cmp_ne_u32_e32 vcc_lo, 0, v2
	s_and_b32 s88, vcc_lo, exec_lo
	s_or_b32 s73, s73, s88
	s_or_b32 exec_lo, exec_lo, s87
	v_mov_b32_e32 v17, 1
	s_and_saveexec_b32 s87, s73
	s_cbranch_execz .LBB77_19
.LBB77_21:                              ;   in Loop: Header=BB77_17 Depth=3
	v_mov_b32_e32 v17, 0
	s_or_b32 exec_lo, exec_lo, s87
	s_delay_alu instid0(SALU_CYCLE_1)
	s_and_not1_b32 vcc_lo, exec_lo, s79
	s_cbranch_vccnz .LBB77_16
.LBB77_22:                              ;   in Loop: Header=BB77_17 Depth=3
	v_max_i32_e32 v2, v15, v16
	s_mov_b32 s73, 0
	s_delay_alu instid0(VALU_DEP_1) | instskip(NEXT) | instid1(VALU_DEP_1)
	v_mul_u64_e32 v[18:19], s[60:61], v[2:3]
	v_mul_lo_u32 v15, v19, s75
	s_delay_alu instid0(VALU_DEP_1) | instskip(SKIP_1) | instid1(VALU_DEP_2)
	v_sub_nc_u32_e32 v2, v2, v15
	v_add_nc_u32_e32 v15, 1, v19
	v_cmp_le_u32_e32 vcc_lo, s75, v2
	s_delay_alu instid0(VALU_DEP_2) | instskip(SKIP_1) | instid1(VALU_DEP_1)
	v_cndmask_b32_e32 v15, v19, v15, vcc_lo
	v_subrev_nc_u32_e32 v16, s75, v2
	v_dual_cndmask_b32 v2, v2, v16, vcc_lo :: v_dual_add_nc_u32 v16, 1, v15
	s_delay_alu instid0(VALU_DEP_1) | instskip(NEXT) | instid1(VALU_DEP_2)
	v_cmp_le_u32_e32 vcc_lo, s75, v2
	v_dual_cndmask_b32 v2, v15, v16, vcc_lo :: v_dual_bitop2_b32 v14, s70, v14 bitop3:0x14
	s_delay_alu instid0(VALU_DEP_1) | instskip(NEXT) | instid1(VALU_DEP_1)
	v_xor_b32_e32 v2, v2, v14
	v_sub_nc_u32_e32 v2, v2, v14
	s_delay_alu instid0(VALU_DEP_1) | instskip(SKIP_2) | instid1(VALU_DEP_3)
	v_mad_nc_u64_u32 v[14:15], s38, v2, s[0:1]
	v_cmp_gt_i32_e32 vcc_lo, s11, v2
	v_ashrrev_i32_e32 v16, 31, v2
	v_mad_u32 v15, s39, v2, v15
	v_cndmask_b32_e32 v2, 0, v17, vcc_lo
	s_delay_alu instid0(VALU_DEP_1) | instskip(NEXT) | instid1(VALU_DEP_3)
	v_and_b32_e32 v24, s2, v2
	v_mad_u32 v15, s38, v16, v15
	v_mov_b64_e32 v[16:17], v[12:13]
	s_branch .LBB77_24
.LBB77_23:                              ;   in Loop: Header=BB77_24 Depth=4
	v_add_nc_u64_e32 v[16:17], s[50:51], v[16:17]
	s_add_co_i32 s73, s73, 1
	s_delay_alu instid0(SALU_CYCLE_1)
	s_cmp_eq_u32 s73, s76
	s_cbranch_scc1 .LBB77_16
.LBB77_24:                              ;   Parent Loop BB77_3 Depth=1
                                        ;     Parent Loop BB77_8 Depth=2
                                        ;       Parent Loop BB77_17 Depth=3
                                        ; =>      This Loop Header: Depth=4
                                        ;           Child Loop BB77_31 Depth 5
	s_mul_i32 s87, s18, s73
	s_delay_alu instid0(SALU_CYCLE_1) | instskip(NEXT) | instid1(VALU_DEP_1)
	v_subrev_nc_u32_e32 v2, s87, v23
	v_dual_sub_nc_u32 v19, 0, v2 :: v_dual_ashrrev_i32 v18, 31, v2
	v_cmp_gt_i32_e64 s87, 0, v2
	v_cmp_lt_i32_e32 vcc_lo, -1, v2
	s_delay_alu instid0(VALU_DEP_3)
	v_max_i32_e32 v2, v2, v19
	s_and_saveexec_b32 s88, vcc_lo
	s_cbranch_execnz .LBB77_27
; %bb.25:                               ;   in Loop: Header=BB77_24 Depth=4
	s_or_b32 exec_lo, exec_lo, s88
	v_mov_b32_e32 v20, 1
	s_and_saveexec_b32 s88, s87
	s_cbranch_execnz .LBB77_28
.LBB77_26:                              ;   in Loop: Header=BB77_24 Depth=4
	s_or_b32 exec_lo, exec_lo, s88
	s_delay_alu instid0(SALU_CYCLE_1)
	s_and_not1_b32 vcc_lo, exec_lo, s80
	s_cbranch_vccz .LBB77_29
	s_branch .LBB77_23
.LBB77_27:                              ;   in Loop: Header=BB77_24 Depth=4
	s_delay_alu instid0(VALU_DEP_1) | instskip(SKIP_1) | instid1(VALU_DEP_1)
	v_mul_u64_e32 v[20:21], s[14:15], v[2:3]
	s_and_not1_b32 s87, s87, exec_lo
	v_mul_lo_u32 v19, v21, s86
	s_delay_alu instid0(VALU_DEP_1) | instskip(NEXT) | instid1(VALU_DEP_1)
	v_sub_nc_u32_e32 v19, v2, v19
	v_subrev_nc_u32_e32 v20, s86, v19
	v_cmp_le_u32_e32 vcc_lo, s86, v19
	s_delay_alu instid0(VALU_DEP_2) | instskip(NEXT) | instid1(VALU_DEP_1)
	v_cndmask_b32_e32 v19, v19, v20, vcc_lo
	v_subrev_nc_u32_e32 v20, s86, v19
	v_cmp_le_u32_e32 vcc_lo, s86, v19
	s_delay_alu instid0(VALU_DEP_2) | instskip(NEXT) | instid1(VALU_DEP_1)
	v_cndmask_b32_e32 v19, v19, v20, vcc_lo
	v_xor_b32_e32 v19, v19, v18
	s_delay_alu instid0(VALU_DEP_1) | instskip(NEXT) | instid1(VALU_DEP_1)
	v_sub_nc_u32_e32 v19, v19, v18
	v_cmp_ne_u32_e32 vcc_lo, 0, v19
	s_and_b32 s89, vcc_lo, exec_lo
	s_delay_alu instid0(SALU_CYCLE_1)
	s_or_b32 s87, s87, s89
	s_or_b32 exec_lo, exec_lo, s88
	v_mov_b32_e32 v20, 1
	s_and_saveexec_b32 s88, s87
	s_cbranch_execz .LBB77_26
.LBB77_28:                              ;   in Loop: Header=BB77_24 Depth=4
	v_mov_b32_e32 v20, 0
	s_or_b32 exec_lo, exec_lo, s88
	s_delay_alu instid0(SALU_CYCLE_1)
	s_and_not1_b32 vcc_lo, exec_lo, s80
	s_cbranch_vccnz .LBB77_23
.LBB77_29:                              ;   in Loop: Header=BB77_24 Depth=4
	v_mul_u64_e32 v[26:27], s[14:15], v[2:3]
	s_mov_b32 s87, s8
	v_xor_b32_e32 v18, s71, v18
	s_delay_alu instid0(VALU_DEP_2) | instskip(NEXT) | instid1(VALU_DEP_1)
	v_mul_lo_u32 v19, v27, s86
	v_sub_nc_u32_e32 v2, v2, v19
	s_delay_alu instid0(VALU_DEP_1) | instskip(SKIP_1) | instid1(VALU_DEP_1)
	v_cmp_le_u32_e32 vcc_lo, s86, v2
	v_add_nc_u32_e32 v19, 1, v27
	v_cndmask_b32_e32 v19, v27, v19, vcc_lo
	v_subrev_nc_u32_e32 v21, s86, v2
	s_delay_alu instid0(VALU_DEP_1) | instskip(NEXT) | instid1(VALU_DEP_1)
	v_dual_cndmask_b32 v2, v2, v21 :: v_dual_add_nc_u32 v21, 1, v19
	v_cmp_le_u32_e32 vcc_lo, s86, v2
	s_delay_alu instid0(VALU_DEP_2) | instskip(NEXT) | instid1(VALU_DEP_1)
	v_cndmask_b32_e32 v2, v19, v21, vcc_lo
	v_xor_b32_e32 v2, v2, v18
	s_delay_alu instid0(VALU_DEP_1) | instskip(NEXT) | instid1(VALU_DEP_1)
	v_sub_nc_u32_e32 v2, v2, v18
	v_cmp_gt_i32_e32 vcc_lo, s12, v2
	v_cndmask_b32_e32 v20, 0, v20, vcc_lo
	s_delay_alu instid0(VALU_DEP_1) | instskip(SKIP_1) | instid1(VALU_DEP_2)
	v_and_b32_e32 v20, v24, v20
	v_mad_nc_u64_u32 v[18:19], s44, v2, v[14:15]
	v_and_b32_e32 v20, 1, v20
	s_delay_alu instid0(VALU_DEP_1) | instskip(SKIP_1) | instid1(VALU_DEP_4)
	v_cmp_eq_u32_e32 vcc_lo, 1, v20
	v_mov_b64_e32 v[20:21], v[16:17]
	v_mad_u32 v19, s45, v2, v19
	v_ashrrev_i32_e32 v2, 31, v2
	s_delay_alu instid0(VALU_DEP_1)
	v_mad_u32 v19, s44, v2, v19
	s_branch .LBB77_31
.LBB77_30:                              ;   in Loop: Header=BB77_31 Depth=5
	s_wait_xcnt 0x0
	s_or_b32 exec_lo, exec_lo, s88
	v_add_nc_u64_e32 v[20:21], s[34:35], v[20:21]
	s_delay_alu instid0(VALU_DEP_2) | instskip(SKIP_1) | instid1(SALU_CYCLE_1)
	v_add_nc_u64_e32 v[18:19], s[46:47], v[18:19]
	s_add_co_i32 s87, s87, -1
	s_cmp_eq_u32 s87, 0
	s_cbranch_scc1 .LBB77_23
.LBB77_31:                              ;   Parent Loop BB77_3 Depth=1
                                        ;     Parent Loop BB77_8 Depth=2
                                        ;       Parent Loop BB77_17 Depth=3
                                        ;         Parent Loop BB77_24 Depth=4
                                        ; =>        This Inner Loop Header: Depth=5
	s_and_saveexec_b32 s88, vcc_lo
	s_cbranch_execz .LBB77_30
; %bb.32:                               ;   in Loop: Header=BB77_31 Depth=5
	global_load_u16 v2, v[18:19], off
	global_load_u16 v25, v[20:21], off
	s_wait_loadcnt 0x1
	v_cvt_f32_f16_e32 v2, v2
	s_wait_loadcnt 0x0
	v_cvt_f32_f16_e32 v25, v25
	s_delay_alu instid0(VALU_DEP_2) | instskip(NEXT) | instid1(VALU_DEP_2)
	v_cvt_f64_f32_e32 v[26:27], v2
	v_cvt_f64_f32_e32 v[28:29], v25
	s_delay_alu instid0(VALU_DEP_1)
	v_fmac_f64_e32 v[4:5], v[26:27], v[28:29]
	s_branch .LBB77_30
.LBB77_33:                              ;   in Loop: Header=BB77_3 Depth=1
	s_delay_alu instid0(VALU_DEP_3) | instskip(SKIP_2) | instid1(VALU_DEP_1)
	v_ashrrev_i32_e32 v9, 31, v8
	s_and_b32 vcc_lo, exec_lo, s83
	s_mov_b32 s0, -1
	v_mul_u64_e32 v[8:9], s[40:41], v[8:9]
	s_delay_alu instid0(VALU_DEP_1) | instskip(NEXT) | instid1(VALU_DEP_1)
	v_mad_nc_u64_u32 v[8:9], s42, v22, v[8:9]
	v_mad_u32 v2, s43, v22, v9
	v_ashrrev_i32_e32 v9, 31, v22
	s_delay_alu instid0(VALU_DEP_1) | instskip(NEXT) | instid1(VALU_DEP_1)
	v_mad_u32 v9, s42, v9, v2
	v_mad_nc_u64_u32 v[8:9], v6, s36, v[8:9]
	s_delay_alu instid0(VALU_DEP_1) | instskip(NEXT) | instid1(VALU_DEP_1)
	v_mad_u32 v1, v1, s36, v9
	v_mad_u32 v9, v6, s37, v1
	s_cbranch_vccz .LBB77_35
; %bb.34:                               ;   in Loop: Header=BB77_3 Depth=1
	s_delay_alu instid0(VALU_DEP_1) | instskip(SKIP_4) | instid1(VALU_DEP_1)
	v_lshl_add_u64 v[10:11], v[8:9], 1, s[4:5]
	s_mov_b32 s0, 0
	global_load_u16 v1, v[10:11], off
	s_wait_loadcnt 0x0
	v_cvt_f32_f16_e32 v1, v1
	v_cvt_f64_f32_e32 v[12:13], v1
	s_delay_alu instid0(VALU_DEP_1) | instskip(NEXT) | instid1(VALU_DEP_1)
	v_mul_f64_e32 v[12:13], s[26:27], v[12:13]
	v_fmac_f64_e32 v[12:13], s[24:25], v[4:5]
	s_delay_alu instid0(VALU_DEP_1) | instskip(SKIP_2) | instid1(VALU_DEP_3)
	v_and_or_b32 v1, 0x1ff, v13, v12
	v_lshrrev_b32_e32 v2, 8, v13
	v_bfe_u32 v6, v13, 20, 11
	v_cmp_ne_u32_e32 vcc_lo, 0, v1
	s_delay_alu instid0(VALU_DEP_2) | instskip(SKIP_2) | instid1(VALU_DEP_1)
	v_sub_nc_u32_e32 v12, 0x3f1, v6
	v_add_nc_u32_e32 v6, 0xfffffc10, v6
	v_cndmask_b32_e64 v1, 0, 1, vcc_lo
	v_and_or_b32 v1, 0xffe, v2, v1
	s_delay_alu instid0(VALU_DEP_4) | instskip(NEXT) | instid1(VALU_DEP_2)
	v_med3_i32 v2, v12, 0, 13
	v_or_b32_e32 v12, 0x1000, v1
	s_delay_alu instid0(VALU_DEP_1) | instskip(NEXT) | instid1(VALU_DEP_1)
	v_lshrrev_b32_e32 v14, v2, v12
	v_lshlrev_b32_e32 v2, v2, v14
	s_delay_alu instid0(VALU_DEP_1) | instskip(SKIP_3) | instid1(VALU_DEP_2)
	v_cmp_ne_u32_e32 vcc_lo, v2, v12
	v_lshl_or_b32 v12, v6, 12, v1
	v_cndmask_b32_e64 v2, 0, 1, vcc_lo
	v_cmp_gt_i32_e32 vcc_lo, 1, v6
	v_or_b32_e32 v2, v14, v2
	s_delay_alu instid0(VALU_DEP_1) | instskip(NEXT) | instid1(VALU_DEP_1)
	v_cndmask_b32_e32 v2, v12, v2, vcc_lo
	v_dual_lshrrev_b32 v2, 2, v2 :: v_dual_bitop2_b32 v12, 7, v2 bitop3:0x40
	s_delay_alu instid0(VALU_DEP_1) | instskip(SKIP_4) | instid1(VALU_DEP_2)
	v_cmp_lt_i32_e32 vcc_lo, 5, v12
	v_cndmask_b32_e64 v14, 0, 1, vcc_lo
	v_cmp_eq_u32_e32 vcc_lo, 3, v12
	v_cndmask_b32_e64 v12, 0, 1, vcc_lo
	v_cmp_ne_u32_e32 vcc_lo, 0, v1
	v_or_b32_e32 v12, v12, v14
	v_cndmask_b32_e32 v1, 0x7c00, v7, vcc_lo
	v_cmp_gt_i32_e32 vcc_lo, 31, v6
	s_delay_alu instid0(VALU_DEP_3) | instskip(NEXT) | instid1(VALU_DEP_1)
	v_add_nc_u32_e32 v2, v2, v12
	v_cndmask_b32_e32 v2, 0x7c00, v2, vcc_lo
	v_cmp_eq_u32_e32 vcc_lo, 0x40f, v6
	s_delay_alu instid0(VALU_DEP_2) | instskip(SKIP_1) | instid1(VALU_DEP_1)
	v_cndmask_b32_e32 v1, v2, v1, vcc_lo
	v_lshrrev_b32_e32 v2, 16, v13
	v_and_or_b32 v1, 0x8000, v2, v1
	global_store_b16 v[10:11], v1, off
.LBB77_35:                              ;   in Loop: Header=BB77_3 Depth=1
	s_and_not1_b32 vcc_lo, exec_lo, s0
	s_cbranch_vccnz .LBB77_2
; %bb.36:                               ;   in Loop: Header=BB77_3 Depth=1
	s_wait_xcnt 0x0
	v_and_or_b32 v1, 0x1ff, v5, v4
	v_lshrrev_b32_e32 v2, 8, v5
	v_bfe_u32 v4, v5, 20, 11
	v_lshrrev_b32_e32 v5, 16, v5
	s_delay_alu instid0(VALU_DEP_4) | instskip(NEXT) | instid1(VALU_DEP_3)
	v_cmp_ne_u32_e32 vcc_lo, 0, v1
	v_sub_nc_u32_e32 v6, 0x3f1, v4
	v_add_nc_u32_e32 v4, 0xfffffc10, v4
	v_cndmask_b32_e64 v1, 0, 1, vcc_lo
	s_delay_alu instid0(VALU_DEP_1) | instskip(NEXT) | instid1(VALU_DEP_4)
	v_and_or_b32 v1, 0xffe, v2, v1
	v_med3_i32 v2, v6, 0, 13
	s_delay_alu instid0(VALU_DEP_2) | instskip(NEXT) | instid1(VALU_DEP_1)
	v_or_b32_e32 v6, 0x1000, v1
	v_lshrrev_b32_e32 v10, v2, v6
	s_delay_alu instid0(VALU_DEP_1) | instskip(NEXT) | instid1(VALU_DEP_1)
	v_lshlrev_b32_e32 v2, v2, v10
	v_cmp_ne_u32_e32 vcc_lo, v2, v6
	v_lshl_or_b32 v6, v4, 12, v1
	v_cndmask_b32_e64 v2, 0, 1, vcc_lo
	v_cmp_gt_i32_e32 vcc_lo, 1, v4
	s_delay_alu instid0(VALU_DEP_2) | instskip(NEXT) | instid1(VALU_DEP_1)
	v_or_b32_e32 v2, v10, v2
	v_cndmask_b32_e32 v2, v6, v2, vcc_lo
	s_delay_alu instid0(VALU_DEP_1) | instskip(NEXT) | instid1(VALU_DEP_1)
	v_dual_lshrrev_b32 v2, 2, v2 :: v_dual_bitop2_b32 v6, 7, v2 bitop3:0x40
	v_cmp_lt_i32_e32 vcc_lo, 5, v6
	v_cndmask_b32_e64 v10, 0, 1, vcc_lo
	v_cmp_eq_u32_e32 vcc_lo, 3, v6
	v_cndmask_b32_e64 v6, 0, 1, vcc_lo
	v_cmp_ne_u32_e32 vcc_lo, 0, v1
	s_delay_alu instid0(VALU_DEP_2) | instskip(SKIP_2) | instid1(VALU_DEP_3)
	v_or_b32_e32 v6, v6, v10
	v_cndmask_b32_e32 v1, 0x7c00, v7, vcc_lo
	v_cmp_gt_i32_e32 vcc_lo, 31, v4
	v_add_nc_u32_e32 v2, v2, v6
	s_delay_alu instid0(VALU_DEP_1) | instskip(SKIP_1) | instid1(VALU_DEP_2)
	v_cndmask_b32_e32 v2, 0x7c00, v2, vcc_lo
	v_cmp_eq_u32_e32 vcc_lo, 0x40f, v4
	v_cndmask_b32_e32 v1, v2, v1, vcc_lo
	s_delay_alu instid0(VALU_DEP_1)
	v_and_or_b32 v1, 0x8000, v5, v1
	v_lshl_add_u64 v[4:5], v[8:9], 1, s[4:5]
	global_store_b16 v[4:5], v1, off
	s_branch .LBB77_2
.LBB77_37:
	s_endpgm
	.section	.rodata,"a",@progbits
	.p2align	6, 0x0
	.amdhsa_kernel naive_conv_ab_nonpacked_bwd_ndhwc_half_double_half
		.amdhsa_group_segment_fixed_size 0
		.amdhsa_private_segment_fixed_size 0
		.amdhsa_kernarg_size 528
		.amdhsa_user_sgpr_count 2
		.amdhsa_user_sgpr_dispatch_ptr 0
		.amdhsa_user_sgpr_queue_ptr 0
		.amdhsa_user_sgpr_kernarg_segment_ptr 1
		.amdhsa_user_sgpr_dispatch_id 0
		.amdhsa_user_sgpr_kernarg_preload_length 0
		.amdhsa_user_sgpr_kernarg_preload_offset 0
		.amdhsa_user_sgpr_private_segment_size 0
		.amdhsa_wavefront_size32 1
		.amdhsa_uses_dynamic_stack 0
		.amdhsa_enable_private_segment 0
		.amdhsa_system_sgpr_workgroup_id_x 1
		.amdhsa_system_sgpr_workgroup_id_y 0
		.amdhsa_system_sgpr_workgroup_id_z 0
		.amdhsa_system_sgpr_workgroup_info 0
		.amdhsa_system_vgpr_workitem_id 0
		.amdhsa_next_free_vgpr 30
		.amdhsa_next_free_sgpr 90
		.amdhsa_named_barrier_count 0
		.amdhsa_reserve_vcc 1
		.amdhsa_float_round_mode_32 0
		.amdhsa_float_round_mode_16_64 0
		.amdhsa_float_denorm_mode_32 3
		.amdhsa_float_denorm_mode_16_64 3
		.amdhsa_fp16_overflow 0
		.amdhsa_memory_ordered 1
		.amdhsa_forward_progress 1
		.amdhsa_inst_pref_size 26
		.amdhsa_round_robin_scheduling 0
		.amdhsa_exception_fp_ieee_invalid_op 0
		.amdhsa_exception_fp_denorm_src 0
		.amdhsa_exception_fp_ieee_div_zero 0
		.amdhsa_exception_fp_ieee_overflow 0
		.amdhsa_exception_fp_ieee_underflow 0
		.amdhsa_exception_fp_ieee_inexact 0
		.amdhsa_exception_int_div_zero 0
	.end_amdhsa_kernel
	.text
.Lfunc_end77:
	.size	naive_conv_ab_nonpacked_bwd_ndhwc_half_double_half, .Lfunc_end77-naive_conv_ab_nonpacked_bwd_ndhwc_half_double_half
                                        ; -- End function
	.set naive_conv_ab_nonpacked_bwd_ndhwc_half_double_half.num_vgpr, 30
	.set naive_conv_ab_nonpacked_bwd_ndhwc_half_double_half.num_agpr, 0
	.set naive_conv_ab_nonpacked_bwd_ndhwc_half_double_half.numbered_sgpr, 90
	.set naive_conv_ab_nonpacked_bwd_ndhwc_half_double_half.num_named_barrier, 0
	.set naive_conv_ab_nonpacked_bwd_ndhwc_half_double_half.private_seg_size, 0
	.set naive_conv_ab_nonpacked_bwd_ndhwc_half_double_half.uses_vcc, 1
	.set naive_conv_ab_nonpacked_bwd_ndhwc_half_double_half.uses_flat_scratch, 0
	.set naive_conv_ab_nonpacked_bwd_ndhwc_half_double_half.has_dyn_sized_stack, 0
	.set naive_conv_ab_nonpacked_bwd_ndhwc_half_double_half.has_recursion, 0
	.set naive_conv_ab_nonpacked_bwd_ndhwc_half_double_half.has_indirect_call, 0
	.section	.AMDGPU.csdata,"",@progbits
; Kernel info:
; codeLenInByte = 3328
; TotalNumSgprs: 92
; NumVgprs: 30
; ScratchSize: 0
; MemoryBound: 0
; FloatMode: 240
; IeeeMode: 1
; LDSByteSize: 0 bytes/workgroup (compile time only)
; SGPRBlocks: 0
; VGPRBlocks: 1
; NumSGPRsForWavesPerEU: 92
; NumVGPRsForWavesPerEU: 30
; NamedBarCnt: 0
; Occupancy: 16
; WaveLimiterHint : 1
; COMPUTE_PGM_RSRC2:SCRATCH_EN: 0
; COMPUTE_PGM_RSRC2:USER_SGPR: 2
; COMPUTE_PGM_RSRC2:TRAP_HANDLER: 0
; COMPUTE_PGM_RSRC2:TGID_X_EN: 1
; COMPUTE_PGM_RSRC2:TGID_Y_EN: 0
; COMPUTE_PGM_RSRC2:TGID_Z_EN: 0
; COMPUTE_PGM_RSRC2:TIDIG_COMP_CNT: 0
	.text
	.protected	naive_conv_ab_packed_bwd_ndhwc_ushort_double_ushort ; -- Begin function naive_conv_ab_packed_bwd_ndhwc_ushort_double_ushort
	.globl	naive_conv_ab_packed_bwd_ndhwc_ushort_double_ushort
	.p2align	8
	.type	naive_conv_ab_packed_bwd_ndhwc_ushort_double_ushort,@function
naive_conv_ab_packed_bwd_ndhwc_ushort_double_ushort: ; @naive_conv_ab_packed_bwd_ndhwc_ushort_double_ushort
; %bb.0:
	s_load_b512 s[4:19], s[0:1], 0xb8
	s_bfe_u32 s2, ttmp6, 0x4000c
	s_and_b32 s3, ttmp6, 15
	s_add_co_i32 s2, s2, 1
	s_getreg_b32 s20, hwreg(HW_REG_IB_STS2, 6, 4)
	s_mul_i32 s2, ttmp9, s2
	s_mov_b32 s26, exec_lo
	s_add_co_i32 s3, s3, s2
	s_cmp_eq_u32 s20, 0
	s_cselect_b32 s20, ttmp9, s3
	s_wait_kmcnt 0x0
	s_abs_i32 s3, s4
	s_mul_i32 s48, s9, s6
	s_cvt_f32_u32 s2, s3
	s_mul_i32 s33, s48, s5
	s_delay_alu instid0(SALU_CYCLE_2) | instskip(SKIP_1) | instid1(TRANS32_DEP_1)
	v_rcp_iflag_f32_e32 v1, s2
	v_nop
	v_readfirstlane_b32 s2, v1
	s_mul_f32 s2, s2, 0x4f7ffffe
	s_delay_alu instid0(SALU_CYCLE_3) | instskip(SKIP_1) | instid1(SALU_CYCLE_2)
	s_cvt_u32_f32 s21, s2
	s_sub_co_i32 s2, 0, s3
	s_mul_i32 s2, s2, s21
	s_delay_alu instid0(SALU_CYCLE_1) | instskip(SKIP_2) | instid1(SALU_CYCLE_1)
	s_mul_hi_u32 s22, s21, s2
	s_abs_i32 s2, s20
	s_add_co_i32 s21, s21, s22
	s_mul_hi_u32 s21, s2, s21
	s_delay_alu instid0(SALU_CYCLE_1) | instskip(SKIP_2) | instid1(SALU_CYCLE_1)
	s_mul_i32 s22, s21, s3
	s_add_co_i32 s23, s21, 1
	s_sub_co_i32 s22, s2, s22
	s_sub_co_i32 s24, s22, s3
	s_cmp_ge_u32 s22, s3
	s_cselect_b32 s21, s23, s21
	s_cselect_b32 s22, s24, s22
	s_add_co_i32 s23, s21, 1
	s_cmp_ge_u32 s22, s3
	s_mul_i32 s22, s7, s4
	s_cselect_b32 s24, s23, s21
	s_abs_i32 s21, s7
	s_abs_i32 s7, s22
	s_cvt_f32_u32 s3, s21
	s_cvt_f32_u32 s23, s7
	s_delay_alu instid0(SALU_CYCLE_2) | instskip(NEXT) | instid1(SALU_CYCLE_2)
	v_rcp_iflag_f32_e32 v1, s3
	v_rcp_iflag_f32_e32 v2, s23
	s_mov_b32 s3, 0
	s_delay_alu instid0(TRANS32_DEP_2) | instskip(NEXT) | instid1(TRANS32_DEP_1)
	v_readfirstlane_b32 s25, v1
	v_readfirstlane_b32 s23, v2
	v_cmpx_gt_i32_e64 s33, v0
	s_cbranch_execz .LBB78_37
; %bb.1:
	s_ashr_i32 s30, s20, 31
	s_ashr_i32 s39, s4, 31
	s_mul_f32 s25, s25, 0x4f7ffffe
	s_xor_b32 s26, s30, s39
	s_mul_f32 s23, s23, 0x4f7ffffe
	s_xor_b32 s24, s24, s26
	s_cvt_u32_f32 s25, s25
	s_sub_co_i32 s29, s24, s26
	s_sub_co_i32 s24, 0, s21
	s_cvt_u32_f32 s23, s23
	s_mul_i32 s24, s24, s25
	s_mov_b32 s27, s3
	s_mul_hi_u32 s26, s25, s24
	s_abs_i32 s24, s29
	s_add_co_i32 s26, s25, s26
	s_mov_b32 s25, s3
	s_sub_co_i32 s28, 0, s7
	s_mul_u64 s[26:27], s[24:25], s[26:27]
	s_mul_i32 s28, s28, s23
	s_ashr_i32 s38, s22, 31
	s_mul_i32 s22, s27, s21
	s_ashr_i32 s31, s29, 31
	s_mul_hi_u32 s25, s23, s28
	s_mul_i32 s29, s29, s4
	s_sub_co_i32 s22, s24, s22
	s_add_co_i32 s28, s23, s25
	s_sub_co_i32 s40, s20, s29
	s_sub_co_i32 s20, s22, s21
	s_cmp_ge_u32 s22, s21
	s_load_b64 s[34:35], s[0:1], 0x108
	s_cselect_b32 s29, s20, s22
	s_mov_b32 s42, s5
	s_sub_co_i32 s36, s29, s21
	s_cmp_ge_u32 s29, s21
	s_load_b256 s[20:27], s[0:1], 0x0
	s_cselect_b32 s36, s36, s29
	s_mov_b32 s29, s3
	s_xor_b32 s41, s36, s31
	s_mul_u64 s[36:37], s[2:3], s[28:29]
	s_sub_co_i32 s54, s41, s31
	s_mul_i32 s28, s37, s7
	s_xor_b32 s41, s30, s38
	s_sub_co_i32 s2, s2, s28
	s_add_co_i32 s36, s37, 1
	s_sub_co_i32 s38, s2, s7
	s_load_b128 s[28:31], s[0:1], 0xf8
	s_cmp_ge_u32 s2, s7
	s_mov_b32 s44, s11
	s_cselect_b32 s36, s36, s37
	s_cselect_b32 s2, s38, s2
	s_add_co_i32 s37, s36, 1
	s_cmp_ge_u32 s2, s7
	s_mov_b32 s38, s4
	s_cselect_b32 s7, s37, s36
	s_wait_kmcnt 0x0
	s_mul_i32 s36, s35, s9
	s_xor_b32 s7, s7, s41
	s_ashr_i32 s55, s54, 31
	s_sub_co_i32 s52, s7, s41
	s_ashr_i32 s43, s5, 31
	s_ashr_i32 s7, s6, 31
	s_mul_u64 s[38:39], s[54:55], s[38:39]
	s_ashr_i32 s37, s36, 31
	s_ashr_i32 s41, s40, 31
	s_mul_u64 s[4:5], s[6:7], s[42:43]
	s_add_nc_u64 s[38:39], s[38:39], s[40:41]
	s_mul_u64 s[42:43], s[4:5], s[36:37]
	s_ashr_i32 s53, s52, 31
	s_ashr_i32 s5, s9, 31
	s_mov_b32 s4, s9
	s_mul_i32 s64, s35, s8
	s_mul_u64 s[38:39], s[42:43], s[38:39]
	s_mul_u64 s[42:43], s[52:53], s[4:5]
	s_lshl_b64 s[50:51], s[38:39], 1
	s_lshl_b64 s[58:59], s[42:43], 1
	s_ashr_i32 s57, s8, 31
	s_ashr_i32 s39, s30, 31
	;; [unrolled: 1-line block ×8, first 2 shown]
	s_cmp_lt_i32 s30, 1
	s_load_b32 s2, s[0:1], 0x11c
	s_cselect_b32 s65, -1, 0
	s_add_co_i32 s19, s40, s19
	s_cmp_gt_i32 s31, 0
	v_cmp_neq_f64_e64 s49, s[24:25], 1.0
	s_cselect_b32 s66, -1, 0
	s_cmp_gt_i32 s34, 0
	v_cmp_neq_f64_e64 s60, s[26:27], 0
	s_cselect_b32 s67, -1, 0
	s_cmp_gt_i32 s8, 0
	s_mov_b32 s42, s10
	s_cselect_b32 s68, -1, 0
	s_abs_i32 s9, s9
	s_abs_i32 s69, s6
	s_cvt_f32_u32 s38, s9
	s_abs_i32 s72, s48
	s_abs_i32 s73, s13
	s_sub_co_i32 s11, 0, s9
	v_rcp_iflag_f32_e32 v1, s38
	s_mov_b32 s38, s30
	s_cvt_f32_u32 s30, s69
	s_wait_kmcnt 0x0
	s_and_b32 s71, s2, 0xffff
	s_mov_b32 s40, s31
	s_sub_co_i32 s31, 0, s69
	s_abs_i32 s74, s14
	v_nop
	v_readfirstlane_b32 s46, v1
	v_rcp_iflag_f32_e32 v1, s30
	s_cvt_f32_u32 s30, s73
	s_ashr_i32 s75, s48, 31
	s_cvt_f32_u32 s48, s74
	s_mul_f32 s10, s46, 0x4f7ffffe
	s_mov_b32 s46, s12
	s_cvt_f32_u32 s12, s72
	v_rcp_iflag_f32_e32 v2, s30
	s_cvt_u32_f32 s2, s10
	v_readfirstlane_b32 s10, v1
	v_rcp_iflag_f32_e32 v1, s12
	s_abs_i32 s76, s15
	s_mul_i32 s11, s11, s2
	s_load_b64 s[0:1], s[0:1], 0x20
	s_mul_f32 s10, s10, 0x4f7ffffe
	s_mul_hi_u32 s11, s2, s11
	s_or_b32 s70, s49, s60
	s_sub_co_i32 s49, 0, s72
	s_cvt_u32_f32 s12, s10
	s_add_co_i32 s10, s2, s11
	v_nop
	v_readfirstlane_b32 s2, v1
	v_rcp_iflag_f32_e32 v1, s48
	s_mul_i32 s31, s31, s12
	s_cvt_f32_u32 s48, s76
	s_mul_hi_u32 s30, s12, s31
	s_mul_f32 s2, s2, 0x4f7ffffe
	s_add_co_i32 s30, s12, s30
	v_readfirstlane_b32 s12, v2
	v_rcp_iflag_f32_e32 v2, s48
	s_cvt_u32_f32 s2, s2
	s_add_nc_u64 s[20:21], s[20:21], s[50:51]
	v_readfirstlane_b32 s51, v1
	s_mul_f32 s12, s12, 0x4f7ffffe
	s_mul_i32 s49, s49, s2
	s_sub_co_i32 s50, 0, s73
	s_mul_hi_u32 s49, s2, s49
	s_cvt_u32_f32 s12, s12
	s_add_co_i32 s48, s2, s49
	s_mov_b32 s56, s8
	s_add_nc_u64 s[20:21], s[20:21], s[58:59]
	s_mul_i32 s50, s50, s12
	s_mul_u64 s[56:57], s[56:57], s[52:53]
	s_mul_hi_u32 s2, s12, s50
	s_mul_f32 s50, s51, 0x4f7ffffe
	v_readfirstlane_b32 s51, v2
	s_add_co_i32 s12, s12, s2
	s_lshl_b64 s[52:53], s[56:57], 1
	s_cvt_u32_f32 s2, s50
	s_mul_u64 s[58:59], s[34:35], s[4:5]
	s_mul_f32 s50, s51, 0x4f7ffffe
	s_sub_co_i32 s51, 0, s74
	s_ashr_i32 s78, s14, 31
	s_mul_i32 s51, s51, s2
	s_cvt_u32_f32 s14, s50
	s_wait_kmcnt 0x0
	s_add_nc_u64 s[52:53], s[0:1], s[52:53]
	s_mul_u64 s[0:1], s[58:59], s[40:41]
	s_mul_hi_u32 s50, s2, s51
	s_sub_co_i32 s51, 0, s76
	s_mul_u64 s[60:61], s[46:47], s[44:45]
	s_mul_u64 s[62:63], s[0:1], s[38:39]
	s_add_co_i32 s50, s2, s50
	s_mul_i32 s2, s51, s14
	s_mul_u64 s[60:61], s[60:61], s[42:43]
	s_mul_u64 s[56:57], s[56:57], s[62:63]
	v_mov_b32_e32 v3, 0
	s_mul_hi_u32 s2, s14, s2
	s_mul_u64 s[54:55], s[60:61], s[54:55]
	s_lshl_b64 s[56:57], s[56:57], 1
	s_mov_b32 s11, s3
	s_mov_b32 s31, s3
	s_mov_b32 s49, s3
	s_ashr_i32 s77, s13, 31
	s_mov_b32 s13, s3
	s_mov_b32 s51, s3
	s_ashr_i32 s79, s15, 31
	s_add_co_i32 s14, s14, s2
	s_mov_b32 s15, s3
	s_lshl_b64 s[54:55], s[54:55], 1
	s_add_nc_u64 s[22:23], s[22:23], s[56:57]
	s_lshl_b64 s[56:57], s[0:1], 1
	s_lshl_b64 s[58:59], s[58:59], 1
	;; [unrolled: 1-line block ×4, first 2 shown]
	s_mov_b32 s35, 0
	s_branch .LBB78_3
.LBB78_2:                               ;   in Loop: Header=BB78_3 Depth=1
	v_add_nc_u32_e32 v0, s71, v0
	s_delay_alu instid0(VALU_DEP_1)
	v_cmp_le_i32_e32 vcc_lo, s33, v0
	s_or_b32 s35, vcc_lo, s35
	s_wait_xcnt 0x0
	s_and_not1_b32 exec_lo, exec_lo, s35
	s_cbranch_execz .LBB78_37
.LBB78_3:                               ; =>This Loop Header: Depth=1
                                        ;     Child Loop BB78_8 Depth 2
                                        ;       Child Loop BB78_17 Depth 3
                                        ;         Child Loop BB78_24 Depth 4
                                        ;           Child Loop BB78_31 Depth 5
	v_sub_nc_u32_e32 v1, 0, v0
	s_mov_b32 s39, -1
	s_delay_alu instid0(VALU_DEP_1) | instskip(NEXT) | instid1(VALU_DEP_1)
	v_max_i32_e32 v2, v0, v1
	v_mul_u64_e32 v[4:5], s[10:11], v[2:3]
	s_delay_alu instid0(VALU_DEP_1) | instskip(NEXT) | instid1(VALU_DEP_1)
	v_mul_lo_u32 v1, v5, s9
	v_sub_nc_u32_e32 v4, v2, v1
	v_add_nc_u32_e32 v1, 1, v5
	s_delay_alu instid0(VALU_DEP_2) | instskip(NEXT) | instid1(VALU_DEP_2)
	v_cmp_le_u32_e32 vcc_lo, s9, v4
	v_dual_cndmask_b32 v5, v5, v1, vcc_lo :: v_dual_ashrrev_i32 v1, 31, v0
	v_subrev_nc_u32_e32 v6, s9, v4
	s_delay_alu instid0(VALU_DEP_1) | instskip(NEXT) | instid1(VALU_DEP_1)
	v_dual_cndmask_b32 v4, v4, v6, vcc_lo :: v_dual_add_nc_u32 v6, 1, v5
	v_cmp_le_u32_e32 vcc_lo, s9, v4
	s_delay_alu instid0(VALU_DEP_2) | instskip(NEXT) | instid1(VALU_DEP_1)
	v_dual_cndmask_b32 v4, v5, v6, vcc_lo :: v_dual_bitop2_b32 v7, s5, v1 bitop3:0x14
	v_dual_mov_b32 v5, v3 :: v_dual_bitop2_b32 v4, v4, v7 bitop3:0x14
	s_delay_alu instid0(VALU_DEP_1) | instskip(SKIP_1) | instid1(VALU_DEP_1)
	v_sub_nc_u32_e32 v8, v4, v7
	v_mul_u64_e32 v[6:7], s[48:49], v[2:3]
	v_mul_lo_u32 v6, v7, s72
	s_delay_alu instid0(VALU_DEP_3) | instskip(NEXT) | instid1(VALU_DEP_1)
	v_sub_nc_u32_e32 v4, 0, v8
	v_max_i32_e32 v4, v8, v4
	s_delay_alu instid0(VALU_DEP_1) | instskip(NEXT) | instid1(VALU_DEP_1)
	v_mul_u64_e32 v[10:11], s[30:31], v[4:5]
	v_mul_lo_u32 v5, v11, s69
	s_delay_alu instid0(VALU_DEP_1) | instskip(SKIP_1) | instid1(VALU_DEP_2)
	v_dual_sub_nc_u32 v4, v4, v5 :: v_dual_sub_nc_u32 v5, v2, v6
	v_mul_lo_u32 v6, v8, s4
	v_subrev_nc_u32_e32 v2, s69, v4
	s_delay_alu instid0(VALU_DEP_3) | instskip(SKIP_2) | instid1(VALU_DEP_1)
	v_subrev_nc_u32_e32 v9, s72, v5
	v_cmp_le_u32_e32 vcc_lo, s69, v4
	v_cmp_le_u32_e64 s0, s72, v5
	v_dual_cndmask_b32 v2, v4, v2, vcc_lo :: v_dual_cndmask_b32 v5, v5, v9, s0
	v_sub_nc_u32_e32 v4, v0, v6
	s_and_not1_b32 vcc_lo, exec_lo, s65
	s_delay_alu instid0(VALU_DEP_2) | instskip(NEXT) | instid1(VALU_DEP_3)
	v_cmp_le_u32_e64 s2, s69, v2
	v_cmp_le_u32_e64 s1, s72, v5
	s_cbranch_vccnz .LBB78_5
; %bb.4:                                ;   in Loop: Header=BB78_3 Depth=1
	v_ashrrev_i32_e32 v5, 31, v4
	s_mov_b32 s39, 0
.LBB78_5:                               ;   in Loop: Header=BB78_3 Depth=1
	v_dual_add_nc_u32 v6, 1, v7 :: v_dual_ashrrev_i32 v8, 31, v8
	s_and_not1_b32 vcc_lo, exec_lo, s39
	s_delay_alu instid0(VALU_DEP_1) | instskip(SKIP_1) | instid1(VALU_DEP_1)
	v_dual_cndmask_b32 v6, v7, v6, s0 :: v_dual_bitop2_b32 v1, s75, v1 bitop3:0x14
	v_subrev_nc_u32_e32 v7, s69, v2
	v_dual_cndmask_b32 v2, v2, v7, s2 :: v_dual_add_nc_u32 v9, 1, v6
	s_delay_alu instid0(VALU_DEP_1) | instskip(NEXT) | instid1(VALU_DEP_1)
	v_cndmask_b32_e64 v6, v6, v9, s1
	v_xor_b32_e32 v9, v6, v1
	s_delay_alu instid0(VALU_DEP_3) | instskip(SKIP_1) | instid1(VALU_DEP_2)
	v_xor_b32_e32 v2, v2, v8
	v_mov_b64_e32 v[6:7], 0
	v_dual_sub_nc_u32 v1, v9, v1 :: v_dual_sub_nc_u32 v8, v2, v8
	s_cbranch_vccnz .LBB78_33
; %bb.6:                                ;   in Loop: Header=BB78_3 Depth=1
	s_delay_alu instid0(VALU_DEP_1) | instskip(SKIP_1) | instid1(VALU_DEP_3)
	v_dual_ashrrev_i32 v5, 31, v4 :: v_dual_add_nc_u32 v9, s28, v1
	v_mov_b64_e32 v[6:7], 0
	v_add_nc_u32_e32 v22, s29, v8
	s_mov_b32 s39, 0
	s_delay_alu instid0(VALU_DEP_3)
	v_lshl_add_u64 v[10:11], v[4:5], 1, s[22:23]
	s_branch .LBB78_8
.LBB78_7:                               ;   in Loop: Header=BB78_8 Depth=2
	v_add_nc_u64_e32 v[10:11], s[56:57], v[10:11]
	s_add_co_i32 s39, s39, 1
	s_delay_alu instid0(SALU_CYCLE_1)
	s_cmp_eq_u32 s39, s38
	s_cbranch_scc1 .LBB78_33
.LBB78_8:                               ;   Parent Loop BB78_3 Depth=1
                                        ; =>  This Loop Header: Depth=2
                                        ;       Child Loop BB78_17 Depth 3
                                        ;         Child Loop BB78_24 Depth 4
                                        ;           Child Loop BB78_31 Depth 5
	s_mul_i32 s0, s16, s39
	s_mov_b32 s81, -1
	s_sub_co_i32 s43, s19, s0
	s_mov_b32 s80, 0
	s_cmp_gt_i32 s43, -1
                                        ; implicit-def: $sgpr2
                                        ; implicit-def: $sgpr1
                                        ; implicit-def: $sgpr0
                                        ; implicit-def: $sgpr41
	s_cbranch_scc1 .LBB78_12
; %bb.9:                                ;   in Loop: Header=BB78_8 Depth=2
	s_and_not1_b32 vcc_lo, exec_lo, s81
	s_cbranch_vccz .LBB78_13
.LBB78_10:                              ;   in Loop: Header=BB78_8 Depth=2
	s_and_not1_b32 vcc_lo, exec_lo, s80
	s_mov_b32 s43, 1
	s_cbranch_vccz .LBB78_14
; %bb.11:                               ;   in Loop: Header=BB78_8 Depth=2
	s_and_not1_b32 vcc_lo, exec_lo, s66
	s_cbranch_vccz .LBB78_15
	s_branch .LBB78_7
.LBB78_12:                              ;   in Loop: Header=BB78_8 Depth=2
	s_abs_i32 s2, s43
	s_delay_alu instid0(SALU_CYCLE_1) | instskip(NEXT) | instid1(SALU_CYCLE_1)
	s_mul_u64 s[0:1], s[2:3], s[12:13]
	s_mul_i32 s0, s1, s73
	s_delay_alu instid0(SALU_CYCLE_1) | instskip(SKIP_4) | instid1(SALU_CYCLE_1)
	s_sub_co_i32 s0, s2, s0
	s_ashr_i32 s2, s43, 31
	s_sub_co_i32 s41, s0, s73
	s_cmp_ge_u32 s0, s73
	s_cselect_b32 s80, s41, s0
	s_sub_co_i32 s81, s80, s73
	s_cmp_ge_u32 s80, s73
	s_cselect_b32 s80, s81, s80
	s_delay_alu instid0(SALU_CYCLE_1) | instskip(NEXT) | instid1(SALU_CYCLE_1)
	s_xor_b32 s80, s80, s2
	s_sub_co_i32 s80, s80, s2
	s_delay_alu instid0(SALU_CYCLE_1)
	s_cmp_lg_u32 s80, 0
	s_cselect_b32 s80, -1, 0
	s_cbranch_execnz .LBB78_10
.LBB78_13:                              ;   in Loop: Header=BB78_8 Depth=2
	s_abs_i32 s2, s43
	s_delay_alu instid0(SALU_CYCLE_1) | instskip(NEXT) | instid1(SALU_CYCLE_1)
	s_mul_u64 s[0:1], s[2:3], s[12:13]
	s_mul_i32 s0, s1, s73
	s_delay_alu instid0(SALU_CYCLE_1)
	s_sub_co_i32 s0, s2, s0
	s_ashr_i32 s2, s43, 31
	s_sub_co_i32 s41, s0, s73
	s_mov_b32 s43, 1
.LBB78_14:                              ;   in Loop: Header=BB78_8 Depth=2
	s_mov_b32 s43, 0
	s_and_not1_b32 vcc_lo, exec_lo, s66
	s_cbranch_vccnz .LBB78_7
.LBB78_15:                              ;   in Loop: Header=BB78_8 Depth=2
	s_xor_b32 s2, s2, s77
	s_add_co_i32 s80, s1, 1
	s_cmp_ge_u32 s0, s73
	v_mov_b64_e32 v[12:13], v[10:11]
	s_cselect_b32 s1, s80, s1
	s_cselect_b32 s0, s41, s0
	s_add_co_i32 s41, s1, 1
	s_cmp_ge_u32 s0, s73
	s_cselect_b32 s0, s41, s1
	s_mov_b32 s41, 0
	s_xor_b32 s0, s0, s2
	s_delay_alu instid0(SALU_CYCLE_1) | instskip(NEXT) | instid1(SALU_CYCLE_1)
	s_sub_co_i32 s0, s0, s2
	s_cmp_lt_i32 s0, s42
	s_cselect_b32 s2, s43, 0
	s_ashr_i32 s1, s0, 31
	s_delay_alu instid0(SALU_CYCLE_1)
	s_mul_u64 s[0:1], s[0:1], s[44:45]
	s_branch .LBB78_17
.LBB78_16:                              ;   in Loop: Header=BB78_17 Depth=3
	v_add_nc_u64_e32 v[12:13], s[58:59], v[12:13]
	s_add_co_i32 s41, s41, 1
	s_delay_alu instid0(SALU_CYCLE_1)
	s_cmp_eq_u32 s41, s40
	s_cbranch_scc1 .LBB78_7
.LBB78_17:                              ;   Parent Loop BB78_3 Depth=1
                                        ;     Parent Loop BB78_8 Depth=2
                                        ; =>    This Loop Header: Depth=3
                                        ;         Child Loop BB78_24 Depth 4
                                        ;           Child Loop BB78_31 Depth 5
	s_mul_i32 s43, s17, s41
	s_mov_b32 s80, exec_lo
	v_subrev_nc_u32_e32 v15, s43, v9
	s_delay_alu instid0(VALU_DEP_1)
	v_cmp_gt_i32_e64 s43, 0, v15
	v_dual_ashrrev_i32 v14, 31, v15 :: v_dual_sub_nc_u32 v16, 0, v15
	v_cmpx_lt_i32_e32 -1, v15
	s_cbranch_execnz .LBB78_20
; %bb.18:                               ;   in Loop: Header=BB78_17 Depth=3
	s_or_b32 exec_lo, exec_lo, s80
	v_mov_b32_e32 v17, 1
	s_and_saveexec_b32 s80, s43
	s_cbranch_execnz .LBB78_21
.LBB78_19:                              ;   in Loop: Header=BB78_17 Depth=3
	s_or_b32 exec_lo, exec_lo, s80
	s_delay_alu instid0(SALU_CYCLE_1)
	s_and_not1_b32 vcc_lo, exec_lo, s67
	s_cbranch_vccz .LBB78_22
	s_branch .LBB78_16
.LBB78_20:                              ;   in Loop: Header=BB78_17 Depth=3
	s_delay_alu instid0(VALU_DEP_2) | instskip(SKIP_1) | instid1(VALU_DEP_1)
	v_max_i32_e32 v2, v15, v16
	s_and_not1_b32 s43, s43, exec_lo
	v_mul_u64_e32 v[18:19], s[50:51], v[2:3]
	s_delay_alu instid0(VALU_DEP_1) | instskip(NEXT) | instid1(VALU_DEP_1)
	v_mul_lo_u32 v17, v19, s74
	v_sub_nc_u32_e32 v2, v2, v17
	s_delay_alu instid0(VALU_DEP_1) | instskip(SKIP_1) | instid1(VALU_DEP_2)
	v_subrev_nc_u32_e32 v17, s74, v2
	v_cmp_le_u32_e32 vcc_lo, s74, v2
	v_cndmask_b32_e32 v2, v2, v17, vcc_lo
	s_delay_alu instid0(VALU_DEP_1) | instskip(SKIP_1) | instid1(VALU_DEP_2)
	v_subrev_nc_u32_e32 v17, s74, v2
	v_cmp_le_u32_e32 vcc_lo, s74, v2
	v_cndmask_b32_e32 v2, v2, v17, vcc_lo
	s_delay_alu instid0(VALU_DEP_1) | instskip(NEXT) | instid1(VALU_DEP_1)
	v_xor_b32_e32 v2, v2, v14
	v_sub_nc_u32_e32 v2, v2, v14
	s_delay_alu instid0(VALU_DEP_1) | instskip(SKIP_1) | instid1(SALU_CYCLE_1)
	v_cmp_ne_u32_e32 vcc_lo, 0, v2
	s_and_b32 s81, vcc_lo, exec_lo
	s_or_b32 s43, s43, s81
	s_or_b32 exec_lo, exec_lo, s80
	v_mov_b32_e32 v17, 1
	s_and_saveexec_b32 s80, s43
	s_cbranch_execz .LBB78_19
.LBB78_21:                              ;   in Loop: Header=BB78_17 Depth=3
	v_mov_b32_e32 v17, 0
	s_or_b32 exec_lo, exec_lo, s80
	s_delay_alu instid0(SALU_CYCLE_1)
	s_and_not1_b32 vcc_lo, exec_lo, s67
	s_cbranch_vccnz .LBB78_16
.LBB78_22:                              ;   in Loop: Header=BB78_17 Depth=3
	v_max_i32_e32 v2, v15, v16
	s_mov_b32 s43, 0
	s_delay_alu instid0(VALU_DEP_1) | instskip(NEXT) | instid1(VALU_DEP_1)
	v_mul_u64_e32 v[18:19], s[50:51], v[2:3]
	v_mul_lo_u32 v15, v19, s74
	s_delay_alu instid0(VALU_DEP_1) | instskip(SKIP_1) | instid1(VALU_DEP_2)
	v_sub_nc_u32_e32 v2, v2, v15
	v_add_nc_u32_e32 v15, 1, v19
	v_cmp_le_u32_e32 vcc_lo, s74, v2
	s_delay_alu instid0(VALU_DEP_2) | instskip(SKIP_1) | instid1(VALU_DEP_1)
	v_cndmask_b32_e32 v15, v19, v15, vcc_lo
	v_subrev_nc_u32_e32 v16, s74, v2
	v_dual_cndmask_b32 v2, v2, v16, vcc_lo :: v_dual_add_nc_u32 v16, 1, v15
	s_delay_alu instid0(VALU_DEP_1) | instskip(NEXT) | instid1(VALU_DEP_2)
	v_cmp_le_u32_e32 vcc_lo, s74, v2
	v_dual_cndmask_b32 v2, v15, v16, vcc_lo :: v_dual_bitop2_b32 v14, s78, v14 bitop3:0x14
	s_delay_alu instid0(VALU_DEP_1) | instskip(NEXT) | instid1(VALU_DEP_1)
	v_xor_b32_e32 v2, v2, v14
	v_sub_nc_u32_e32 v18, v2, v14
	s_delay_alu instid0(VALU_DEP_1) | instskip(SKIP_2) | instid1(VALU_DEP_2)
	v_cmp_gt_i32_e32 vcc_lo, s44, v18
	v_dual_cndmask_b32 v2, 0, v17 :: v_dual_ashrrev_i32 v19, 31, v18
	v_mov_b64_e32 v[16:17], v[12:13]
	v_and_b32_e32 v23, s2, v2
	s_delay_alu instid0(VALU_DEP_3) | instskip(NEXT) | instid1(VALU_DEP_1)
	v_add_nc_u64_e32 v[14:15], s[0:1], v[18:19]
	v_mul_u64_e32 v[14:15], s[46:47], v[14:15]
	s_branch .LBB78_24
.LBB78_23:                              ;   in Loop: Header=BB78_24 Depth=4
	v_add_nc_u64_e32 v[16:17], s[60:61], v[16:17]
	s_add_co_i32 s43, s43, 1
	s_delay_alu instid0(SALU_CYCLE_1)
	s_cmp_eq_u32 s43, s34
	s_cbranch_scc1 .LBB78_16
.LBB78_24:                              ;   Parent Loop BB78_3 Depth=1
                                        ;     Parent Loop BB78_8 Depth=2
                                        ;       Parent Loop BB78_17 Depth=3
                                        ; =>      This Loop Header: Depth=4
                                        ;           Child Loop BB78_31 Depth 5
	s_mul_i32 s80, s18, s43
	s_delay_alu instid0(SALU_CYCLE_1) | instskip(NEXT) | instid1(VALU_DEP_1)
	v_subrev_nc_u32_e32 v2, s80, v22
	v_dual_sub_nc_u32 v19, 0, v2 :: v_dual_ashrrev_i32 v18, 31, v2
	v_cmp_gt_i32_e64 s80, 0, v2
	v_cmp_lt_i32_e32 vcc_lo, -1, v2
	s_delay_alu instid0(VALU_DEP_3)
	v_max_i32_e32 v2, v2, v19
	s_and_saveexec_b32 s81, vcc_lo
	s_cbranch_execnz .LBB78_27
; %bb.25:                               ;   in Loop: Header=BB78_24 Depth=4
	s_or_b32 exec_lo, exec_lo, s81
	v_mov_b32_e32 v20, 1
	s_and_saveexec_b32 s81, s80
	s_cbranch_execnz .LBB78_28
.LBB78_26:                              ;   in Loop: Header=BB78_24 Depth=4
	s_or_b32 exec_lo, exec_lo, s81
	s_delay_alu instid0(SALU_CYCLE_1)
	s_and_not1_b32 vcc_lo, exec_lo, s68
	s_cbranch_vccz .LBB78_29
	s_branch .LBB78_23
.LBB78_27:                              ;   in Loop: Header=BB78_24 Depth=4
	s_delay_alu instid0(VALU_DEP_1) | instskip(SKIP_1) | instid1(VALU_DEP_1)
	v_mul_u64_e32 v[20:21], s[14:15], v[2:3]
	s_and_not1_b32 s80, s80, exec_lo
	v_mul_lo_u32 v19, v21, s76
	s_delay_alu instid0(VALU_DEP_1) | instskip(NEXT) | instid1(VALU_DEP_1)
	v_sub_nc_u32_e32 v19, v2, v19
	v_subrev_nc_u32_e32 v20, s76, v19
	v_cmp_le_u32_e32 vcc_lo, s76, v19
	s_delay_alu instid0(VALU_DEP_2) | instskip(NEXT) | instid1(VALU_DEP_1)
	v_cndmask_b32_e32 v19, v19, v20, vcc_lo
	v_subrev_nc_u32_e32 v20, s76, v19
	v_cmp_le_u32_e32 vcc_lo, s76, v19
	s_delay_alu instid0(VALU_DEP_2) | instskip(NEXT) | instid1(VALU_DEP_1)
	v_cndmask_b32_e32 v19, v19, v20, vcc_lo
	v_xor_b32_e32 v19, v19, v18
	s_delay_alu instid0(VALU_DEP_1) | instskip(NEXT) | instid1(VALU_DEP_1)
	v_sub_nc_u32_e32 v19, v19, v18
	v_cmp_ne_u32_e32 vcc_lo, 0, v19
	s_and_b32 s82, vcc_lo, exec_lo
	s_delay_alu instid0(SALU_CYCLE_1)
	s_or_b32 s80, s80, s82
	s_or_b32 exec_lo, exec_lo, s81
	v_mov_b32_e32 v20, 1
	s_and_saveexec_b32 s81, s80
	s_cbranch_execz .LBB78_26
.LBB78_28:                              ;   in Loop: Header=BB78_24 Depth=4
	v_mov_b32_e32 v20, 0
	s_or_b32 exec_lo, exec_lo, s81
	s_delay_alu instid0(SALU_CYCLE_1)
	s_and_not1_b32 vcc_lo, exec_lo, s68
	s_cbranch_vccnz .LBB78_23
.LBB78_29:                              ;   in Loop: Header=BB78_24 Depth=4
	v_mul_u64_e32 v[24:25], s[14:15], v[2:3]
	s_mov_b32 s80, s8
	v_xor_b32_e32 v18, s79, v18
	s_delay_alu instid0(VALU_DEP_2) | instskip(NEXT) | instid1(VALU_DEP_1)
	v_mul_lo_u32 v19, v25, s76
	v_dual_sub_nc_u32 v2, v2, v19 :: v_dual_add_nc_u32 v19, 1, v25
	s_delay_alu instid0(VALU_DEP_1) | instskip(SKIP_1) | instid1(VALU_DEP_2)
	v_subrev_nc_u32_e32 v21, s76, v2
	v_cmp_le_u32_e32 vcc_lo, s76, v2
	v_dual_cndmask_b32 v19, v25, v19 :: v_dual_cndmask_b32 v2, v2, v21
	s_delay_alu instid0(VALU_DEP_1) | instskip(NEXT) | instid1(VALU_DEP_2)
	v_add_nc_u32_e32 v21, 1, v19
	v_cmp_le_u32_e32 vcc_lo, s76, v2
	s_delay_alu instid0(VALU_DEP_2) | instskip(NEXT) | instid1(VALU_DEP_1)
	v_cndmask_b32_e32 v2, v19, v21, vcc_lo
	v_xor_b32_e32 v2, v2, v18
	s_delay_alu instid0(VALU_DEP_1) | instskip(NEXT) | instid1(VALU_DEP_1)
	v_sub_nc_u32_e32 v24, v2, v18
	v_cmp_gt_i32_e32 vcc_lo, s46, v24
	v_cndmask_b32_e32 v2, 0, v20, vcc_lo
	v_ashrrev_i32_e32 v25, 31, v24
	v_mov_b64_e32 v[20:21], v[16:17]
	s_delay_alu instid0(VALU_DEP_3) | instskip(NEXT) | instid1(VALU_DEP_3)
	v_and_b32_e32 v2, v23, v2
	v_add_nc_u64_e32 v[18:19], v[14:15], v[24:25]
	s_delay_alu instid0(VALU_DEP_2) | instskip(NEXT) | instid1(VALU_DEP_2)
	v_and_b32_e32 v2, 1, v2
	v_lshl_add_u64 v[26:27], v[18:19], 1, s[54:55]
	s_delay_alu instid0(VALU_DEP_2) | instskip(NEXT) | instid1(VALU_DEP_2)
	v_cmp_eq_u32_e32 vcc_lo, 1, v2
	v_mad_nc_u64_u32 v[18:19], s64, v26, s[52:53]
	s_delay_alu instid0(VALU_DEP_1) | instskip(NEXT) | instid1(VALU_DEP_1)
	v_mad_u32 v19, s7, v26, v19
	v_mad_u32 v19, s64, v27, v19
	s_branch .LBB78_31
.LBB78_30:                              ;   in Loop: Header=BB78_31 Depth=5
	s_wait_xcnt 0x0
	s_or_b32 exec_lo, exec_lo, s81
	s_delay_alu instid0(VALU_DEP_1) | instskip(SKIP_2) | instid1(SALU_CYCLE_1)
	v_add_nc_u64_e32 v[18:19], 2, v[18:19]
	v_add_nc_u64_e32 v[20:21], s[62:63], v[20:21]
	s_add_co_i32 s80, s80, -1
	s_cmp_eq_u32 s80, 0
	s_cbranch_scc1 .LBB78_23
.LBB78_31:                              ;   Parent Loop BB78_3 Depth=1
                                        ;     Parent Loop BB78_8 Depth=2
                                        ;       Parent Loop BB78_17 Depth=3
                                        ;         Parent Loop BB78_24 Depth=4
                                        ; =>        This Inner Loop Header: Depth=5
	s_and_saveexec_b32 s81, vcc_lo
	s_cbranch_execz .LBB78_30
; %bb.32:                               ;   in Loop: Header=BB78_31 Depth=5
	global_load_u16 v2, v[20:21], off
	global_load_u16 v24, v[18:19], off
	s_wait_loadcnt 0x0
	v_dual_lshlrev_b32 v2, 16, v2 :: v_dual_lshlrev_b32 v26, 16, v24
	s_delay_alu instid0(VALU_DEP_1) | instskip(NEXT) | instid1(VALU_DEP_2)
	v_cvt_f64_f32_e32 v[24:25], v2
	v_cvt_f64_f32_e32 v[26:27], v26
	s_delay_alu instid0(VALU_DEP_1)
	v_fmac_f64_e32 v[6:7], v[26:27], v[24:25]
	s_branch .LBB78_30
.LBB78_33:                              ;   in Loop: Header=BB78_3 Depth=1
	s_delay_alu instid0(VALU_DEP_1) | instskip(SKIP_2) | instid1(VALU_DEP_1)
	v_ashrrev_i32_e32 v9, 31, v8
	s_and_b32 vcc_lo, exec_lo, s70
	s_mov_b32 s0, -1
	v_mad_nc_i64_i32 v[8:9], v1, s6, v[8:9]
	s_delay_alu instid0(VALU_DEP_1) | instskip(NEXT) | instid1(VALU_DEP_1)
	v_mad_nc_u64_u32 v[4:5], v8, s36, v[4:5]
	v_mad_u32 v1, v9, s36, v5
	s_delay_alu instid0(VALU_DEP_1)
	v_mad_u32 v5, v8, s37, v1
	s_cbranch_vccz .LBB78_35
; %bb.34:                               ;   in Loop: Header=BB78_3 Depth=1
	s_delay_alu instid0(VALU_DEP_1) | instskip(SKIP_3) | instid1(VALU_DEP_1)
	v_lshl_add_u64 v[8:9], v[4:5], 1, s[20:21]
	global_load_u16 v1, v[8:9], off
	s_wait_loadcnt 0x0
	v_lshlrev_b32_e32 v1, 16, v1
	v_cvt_f64_f32_e32 v[10:11], v1
	s_delay_alu instid0(VALU_DEP_1) | instskip(NEXT) | instid1(VALU_DEP_1)
	v_mul_f64_e32 v[10:11], s[26:27], v[10:11]
	v_fmac_f64_e32 v[10:11], s[24:25], v[6:7]
	s_delay_alu instid0(VALU_DEP_1) | instskip(NEXT) | instid1(VALU_DEP_1)
	v_cvt_f32_f64_e32 v1, v[10:11]
	v_and_b32_e32 v2, 0x7f800000, v1
	v_and_b32_e32 v10, 0xffff, v1
	v_lshrrev_b32_e32 v1, 16, v1
	s_delay_alu instid0(VALU_DEP_3) | instskip(NEXT) | instid1(VALU_DEP_3)
	v_cmp_eq_u32_e32 vcc_lo, 0x7f800000, v2
	v_cmp_ne_u32_e64 s0, 0, v10
	s_and_b32 s0, vcc_lo, s0
	s_delay_alu instid0(SALU_CYCLE_1) | instskip(SKIP_1) | instid1(VALU_DEP_1)
	v_cndmask_b32_e64 v2, 0, 1, s0
	s_mov_b32 s0, 0
	v_or_b32_e32 v1, v1, v2
	global_store_b16 v[8:9], v1, off
.LBB78_35:                              ;   in Loop: Header=BB78_3 Depth=1
	s_and_not1_b32 vcc_lo, exec_lo, s0
	s_cbranch_vccnz .LBB78_2
; %bb.36:                               ;   in Loop: Header=BB78_3 Depth=1
	s_wait_xcnt 0x0
	v_cvt_f32_f64_e32 v1, v[6:7]
	s_delay_alu instid0(VALU_DEP_2) | instskip(NEXT) | instid1(VALU_DEP_2)
	v_lshl_add_u64 v[4:5], v[4:5], 1, s[20:21]
	v_and_b32_e32 v2, 0x7f800000, v1
	v_and_b32_e32 v6, 0xffff, v1
	v_lshrrev_b32_e32 v1, 16, v1
	s_delay_alu instid0(VALU_DEP_3) | instskip(NEXT) | instid1(VALU_DEP_3)
	v_cmp_eq_u32_e32 vcc_lo, 0x7f800000, v2
	v_cmp_ne_u32_e64 s0, 0, v6
	s_and_b32 s0, vcc_lo, s0
	s_delay_alu instid0(SALU_CYCLE_1) | instskip(NEXT) | instid1(VALU_DEP_1)
	v_cndmask_b32_e64 v2, 0, 1, s0
	v_or_b32_e32 v1, v1, v2
	global_store_b16 v[4:5], v1, off
	s_branch .LBB78_2
.LBB78_37:
	s_endpgm
	.section	.rodata,"a",@progbits
	.p2align	6, 0x0
	.amdhsa_kernel naive_conv_ab_packed_bwd_ndhwc_ushort_double_ushort
		.amdhsa_group_segment_fixed_size 0
		.amdhsa_private_segment_fixed_size 0
		.amdhsa_kernarg_size 528
		.amdhsa_user_sgpr_count 2
		.amdhsa_user_sgpr_dispatch_ptr 0
		.amdhsa_user_sgpr_queue_ptr 0
		.amdhsa_user_sgpr_kernarg_segment_ptr 1
		.amdhsa_user_sgpr_dispatch_id 0
		.amdhsa_user_sgpr_kernarg_preload_length 0
		.amdhsa_user_sgpr_kernarg_preload_offset 0
		.amdhsa_user_sgpr_private_segment_size 0
		.amdhsa_wavefront_size32 1
		.amdhsa_uses_dynamic_stack 0
		.amdhsa_enable_private_segment 0
		.amdhsa_system_sgpr_workgroup_id_x 1
		.amdhsa_system_sgpr_workgroup_id_y 0
		.amdhsa_system_sgpr_workgroup_id_z 0
		.amdhsa_system_sgpr_workgroup_info 0
		.amdhsa_system_vgpr_workitem_id 0
		.amdhsa_next_free_vgpr 28
		.amdhsa_next_free_sgpr 83
		.amdhsa_named_barrier_count 0
		.amdhsa_reserve_vcc 1
		.amdhsa_float_round_mode_32 0
		.amdhsa_float_round_mode_16_64 0
		.amdhsa_float_denorm_mode_32 3
		.amdhsa_float_denorm_mode_16_64 3
		.amdhsa_fp16_overflow 0
		.amdhsa_memory_ordered 1
		.amdhsa_forward_progress 1
		.amdhsa_inst_pref_size 24
		.amdhsa_round_robin_scheduling 0
		.amdhsa_exception_fp_ieee_invalid_op 0
		.amdhsa_exception_fp_denorm_src 0
		.amdhsa_exception_fp_ieee_div_zero 0
		.amdhsa_exception_fp_ieee_overflow 0
		.amdhsa_exception_fp_ieee_underflow 0
		.amdhsa_exception_fp_ieee_inexact 0
		.amdhsa_exception_int_div_zero 0
	.end_amdhsa_kernel
	.text
.Lfunc_end78:
	.size	naive_conv_ab_packed_bwd_ndhwc_ushort_double_ushort, .Lfunc_end78-naive_conv_ab_packed_bwd_ndhwc_ushort_double_ushort
                                        ; -- End function
	.set naive_conv_ab_packed_bwd_ndhwc_ushort_double_ushort.num_vgpr, 28
	.set naive_conv_ab_packed_bwd_ndhwc_ushort_double_ushort.num_agpr, 0
	.set naive_conv_ab_packed_bwd_ndhwc_ushort_double_ushort.numbered_sgpr, 83
	.set naive_conv_ab_packed_bwd_ndhwc_ushort_double_ushort.num_named_barrier, 0
	.set naive_conv_ab_packed_bwd_ndhwc_ushort_double_ushort.private_seg_size, 0
	.set naive_conv_ab_packed_bwd_ndhwc_ushort_double_ushort.uses_vcc, 1
	.set naive_conv_ab_packed_bwd_ndhwc_ushort_double_ushort.uses_flat_scratch, 0
	.set naive_conv_ab_packed_bwd_ndhwc_ushort_double_ushort.has_dyn_sized_stack, 0
	.set naive_conv_ab_packed_bwd_ndhwc_ushort_double_ushort.has_recursion, 0
	.set naive_conv_ab_packed_bwd_ndhwc_ushort_double_ushort.has_indirect_call, 0
	.section	.AMDGPU.csdata,"",@progbits
; Kernel info:
; codeLenInByte = 2968
; TotalNumSgprs: 85
; NumVgprs: 28
; ScratchSize: 0
; MemoryBound: 0
; FloatMode: 240
; IeeeMode: 1
; LDSByteSize: 0 bytes/workgroup (compile time only)
; SGPRBlocks: 0
; VGPRBlocks: 1
; NumSGPRsForWavesPerEU: 85
; NumVGPRsForWavesPerEU: 28
; NamedBarCnt: 0
; Occupancy: 16
; WaveLimiterHint : 1
; COMPUTE_PGM_RSRC2:SCRATCH_EN: 0
; COMPUTE_PGM_RSRC2:USER_SGPR: 2
; COMPUTE_PGM_RSRC2:TRAP_HANDLER: 0
; COMPUTE_PGM_RSRC2:TGID_X_EN: 1
; COMPUTE_PGM_RSRC2:TGID_Y_EN: 0
; COMPUTE_PGM_RSRC2:TGID_Z_EN: 0
; COMPUTE_PGM_RSRC2:TIDIG_COMP_CNT: 0
	.text
	.protected	naive_conv_ab_nonpacked_bwd_ndhwc_ushort_double_ushort ; -- Begin function naive_conv_ab_nonpacked_bwd_ndhwc_ushort_double_ushort
	.globl	naive_conv_ab_nonpacked_bwd_ndhwc_ushort_double_ushort
	.p2align	8
	.type	naive_conv_ab_nonpacked_bwd_ndhwc_ushort_double_ushort,@function
naive_conv_ab_nonpacked_bwd_ndhwc_ushort_double_ushort: ; @naive_conv_ab_nonpacked_bwd_ndhwc_ushort_double_ushort
; %bb.0:
	s_load_b512 s[4:19], s[0:1], 0xb8
	s_bfe_u32 s2, ttmp6, 0x4000c
	s_and_b32 s3, ttmp6, 15
	s_add_co_i32 s2, s2, 1
	s_getreg_b32 s20, hwreg(HW_REG_IB_STS2, 6, 4)
	s_mul_i32 s2, ttmp9, s2
	s_mov_b32 s25, exec_lo
	s_add_co_i32 s3, s3, s2
	s_cmp_eq_u32 s20, 0
	s_cselect_b32 s20, ttmp9, s3
	s_wait_kmcnt 0x0
	s_abs_i32 s3, s4
	s_mul_i32 s85, s9, s6
	s_cvt_f32_u32 s2, s3
	s_mul_i32 s33, s85, s5
	s_delay_alu instid0(SALU_CYCLE_2) | instskip(SKIP_1) | instid1(TRANS32_DEP_1)
	v_rcp_iflag_f32_e32 v1, s2
	v_nop
	v_readfirstlane_b32 s2, v1
	s_mul_f32 s2, s2, 0x4f7ffffe
	s_delay_alu instid0(SALU_CYCLE_3) | instskip(SKIP_1) | instid1(SALU_CYCLE_2)
	s_cvt_u32_f32 s21, s2
	s_sub_co_i32 s2, 0, s3
	s_mul_i32 s2, s2, s21
	s_delay_alu instid0(SALU_CYCLE_1) | instskip(SKIP_2) | instid1(SALU_CYCLE_1)
	s_mul_hi_u32 s22, s21, s2
	s_abs_i32 s2, s20
	s_add_co_i32 s21, s21, s22
	s_mul_hi_u32 s21, s2, s21
	s_delay_alu instid0(SALU_CYCLE_1) | instskip(SKIP_2) | instid1(SALU_CYCLE_1)
	s_mul_i32 s22, s21, s3
	s_add_co_i32 s23, s21, 1
	s_sub_co_i32 s22, s2, s22
	s_sub_co_i32 s24, s22, s3
	s_cmp_ge_u32 s22, s3
	s_cselect_b32 s21, s23, s21
	s_cselect_b32 s22, s24, s22
	s_add_co_i32 s23, s21, 1
	s_cmp_ge_u32 s22, s3
	s_mul_i32 s22, s7, s4
	s_cselect_b32 s23, s23, s21
	s_abs_i32 s21, s7
	s_abs_i32 s7, s22
	s_cvt_f32_u32 s3, s21
	s_cvt_f32_u32 s24, s7
	s_delay_alu instid0(SALU_CYCLE_2) | instskip(NEXT) | instid1(SALU_CYCLE_2)
	v_rcp_iflag_f32_e32 v1, s3
	v_rcp_iflag_f32_e32 v2, s24
	s_mov_b32 s3, 0
	v_nop
	s_delay_alu instid0(TRANS32_DEP_2) | instskip(NEXT) | instid1(TRANS32_DEP_1)
	v_readfirstlane_b32 s24, v1
	v_readfirstlane_b32 s5, v2
	v_cmpx_gt_i32_e64 s33, v0
	s_cbranch_execz .LBB79_37
; %bb.1:
	s_mul_f32 s24, s24, 0x4f7ffffe
	s_ashr_i32 s52, s20, 31
	s_ashr_i32 s25, s4, 31
	s_mul_f32 s5, s5, 0x4f7ffffe
	s_cvt_u32_f32 s26, s24
	s_xor_b32 s25, s52, s25
	s_sub_co_i32 s24, 0, s21
	s_xor_b32 s23, s23, s25
	s_mul_i32 s24, s24, s26
	s_cvt_u32_f32 s5, s5
	s_sub_co_i32 s23, s23, s25
	s_mul_hi_u32 s25, s26, s24
	s_sub_co_i32 s28, 0, s7
	s_abs_i32 s24, s23
	s_add_co_i32 s26, s26, s25
	s_mov_b32 s25, s3
	s_mov_b32 s27, s3
	s_mul_i32 s28, s28, s5
	s_mul_u64 s[26:27], s[24:25], s[26:27]
	s_mul_hi_u32 s25, s5, s28
	s_ashr_i32 s26, s22, 31
	s_add_co_i32 s22, s5, s25
	s_mul_i32 s5, s27, s21
	s_ashr_i32 s53, s23, 31
	s_mul_i32 s23, s23, s4
	s_sub_co_i32 s5, s24, s5
	s_sub_co_i32 s4, s20, s23
	;; [unrolled: 1-line block ×3, first 2 shown]
	s_cmp_ge_u32 s5, s21
	s_mov_b32 s23, s3
	s_cselect_b32 s5, s20, s5
	s_mul_u64 s[34:35], s[2:3], s[22:23]
	s_sub_co_i32 s20, s5, s21
	s_cmp_ge_u32 s5, s21
	s_load_b512 s[36:51], s[0:1], 0x28
	s_cselect_b32 s5, s20, s5
	s_xor_b32 s34, s52, s26
	s_xor_b32 s5, s5, s53
	s_load_b256 s[20:27], s[0:1], 0x0
	s_sub_co_i32 s72, s5, s53
	s_mul_i32 s5, s35, s7
	s_clause 0x1
	s_load_b128 s[28:31], s[0:1], 0xf8
	s_load_b128 s[68:71], s[0:1], 0xa8
	s_sub_co_i32 s2, s2, s5
	s_add_co_i32 s5, s35, 1
	s_sub_co_i32 s52, s2, s7
	s_cmp_ge_u32 s2, s7
	s_clause 0x1
	s_load_b32 s76, s[0:1], 0x108
	s_load_b32 s86, s[0:1], 0x11c
	s_cselect_b32 s5, s5, s35
	s_cselect_b32 s2, s52, s2
	s_add_co_i32 s35, s5, 1
	s_cmp_ge_u32 s2, s7
	s_load_b512 s[52:67], s[0:1], 0x68
	s_cselect_b32 s2, s35, s5
	s_ashr_i32 s73, s72, 31
	s_xor_b32 s2, s2, s34
	s_ashr_i32 s5, s4, 31
	s_sub_co_i32 s74, s2, s34
	s_wait_kmcnt 0x0
	v_cmp_neq_f64_e64 s2, s[24:25], 1.0
	s_ashr_i32 s75, s74, 31
	v_cmp_neq_f64_e64 s7, s[26:27], 0
	s_mul_u64 s[34:35], s[46:47], s[72:73]
	s_mul_u64 s[44:45], s[44:45], s[4:5]
	;; [unrolled: 1-line block ×3, first 2 shown]
	s_lshl_b64 s[34:35], s[34:35], 1
	s_lshl_b64 s[44:45], s[44:45], 1
	;; [unrolled: 1-line block ×3, first 2 shown]
	s_cmp_lt_i32 s30, 1
	s_load_b64 s[0:1], s[0:1], 0x20
	s_cselect_b32 s77, -1, 0
	s_add_co_i32 s19, s4, s19
	s_cmp_gt_i32 s31, 0
	s_mul_u64 s[88:89], s[58:59], s[74:75]
	s_cselect_b32 s78, -1, 0
	s_cmp_gt_i32 s76, 0
	s_mul_u64 s[62:63], s[62:63], s[74:75]
	s_cselect_b32 s79, -1, 0
	s_cmp_gt_i32 s8, 0
	v_mov_b32_e32 v3, 0
	s_cselect_b32 s80, -1, 0
	s_abs_i32 s81, s9
	s_abs_i32 s82, s6
	s_cvt_f32_u32 s4, s81
	s_cvt_f32_u32 s6, s82
	s_abs_i32 s84, s85
	s_abs_i32 s74, s13
	v_rcp_iflag_f32_e32 v1, s4
	v_rcp_iflag_f32_e32 v2, s6
	s_add_nc_u64 s[4:5], s[20:21], s[34:35]
	s_lshl_b64 s[20:21], s[52:53], 1
	s_cvt_f32_u32 s52, s84
	s_lshl_b64 s[34:35], s[56:57], 1
	s_or_b32 s83, s2, s7
	v_nop
	v_readfirstlane_b32 s6, v1
	v_rcp_iflag_f32_e32 v1, s52
	v_readfirstlane_b32 s87, v2
	s_cvt_f32_u32 s56, s74
	s_sub_co_i32 s53, 0, s81
	s_mul_f32 s2, s6, 0x4f7ffffe
	s_lshl_b64 s[6:7], s[54:55], 1
	s_mul_f32 s52, s87, 0x4f7ffffe
	v_readfirstlane_b32 s55, v1
	s_cvt_u32_f32 s2, s2
	v_rcp_iflag_f32_e32 v1, s56
	s_cvt_u32_f32 s54, s52
	s_sub_co_i32 s57, 0, s82
	s_mul_i32 s53, s53, s2
	s_abs_i32 s75, s14
	s_mul_hi_u32 s53, s2, s53
	s_mul_i32 s57, s57, s54
	s_add_co_i32 s52, s2, s53
	s_mul_f32 s2, s55, 0x4f7ffffe
	v_nop
	v_readfirstlane_b32 s56, v1
	s_mul_hi_u32 s55, s54, s57
	s_cvt_f32_u32 s58, s75
	s_cvt_u32_f32 s2, s2
	s_add_co_i32 s54, s54, s55
	s_sub_co_i32 s55, 0, s84
	s_add_nc_u64 s[4:5], s[4:5], s[44:45]
	s_mul_i32 s57, s55, s2
	s_mul_f32 s59, s56, 0x4f7ffffe
	v_rcp_iflag_f32_e32 v1, s58
	s_add_nc_u64 s[4:5], s[4:5], s[38:39]
	s_lshl_b64 s[38:39], s[66:67], 1
	s_and_b32 s66, s86, 0xffff
	s_mul_hi_u32 s57, s2, s57
	s_abs_i32 s86, s15
	s_add_co_i32 s56, s2, s57
	s_cvt_u32_f32 s2, s59
	s_cvt_f32_u32 s59, s86
	s_lshl_b64 s[46:47], s[60:61], 1
	v_nop
	v_readfirstlane_b32 s60, v1
	s_sub_co_i32 s58, 0, s74
	v_rcp_iflag_f32_e32 v1, s59
	s_lshl_b64 s[44:45], s[64:65], 1
	s_mul_i32 s58, s58, s2
	s_mul_f32 s60, s60, 0x4f7ffffe
	s_mul_hi_u32 s58, s2, s58
	s_sub_co_i32 s65, 0, s75
	s_add_co_i32 s58, s2, s58
	v_nop
	v_readfirstlane_b32 s64, v1
	s_cvt_u32_f32 s2, s60
	s_mul_u64 s[60:61], s[70:71], s[72:73]
	s_lshl_b64 s[62:63], s[62:63], 1
	s_lshl_b64 s[60:61], s[60:61], 1
	s_mul_f32 s64, s64, 0x4f7ffffe
	s_ashr_i32 s70, s14, 31
	s_mul_i32 s65, s65, s2
	s_add_nc_u64 s[62:63], s[62:63], s[60:61]
	s_cvt_u32_f32 s14, s64
	s_mul_hi_u32 s60, s2, s65
	s_sub_co_i32 s61, 0, s86
	s_add_co_i32 s60, s2, s60
	s_mul_i32 s2, s61, s14
	s_wait_kmcnt 0x0
	s_add_nc_u64 s[62:63], s[0:1], s[62:63]
	s_mul_hi_u32 s2, s14, s2
	s_lshl_b64 s[0:1], s[88:89], 1
	s_ashr_i32 s67, s9, 31
	s_mov_b32 s53, s3
	s_mov_b32 s55, s3
	s_ashr_i32 s85, s85, 31
	s_mov_b32 s57, s3
	s_ashr_i32 s13, s13, 31
	s_mov_b32 s59, s3
	s_mov_b32 s61, s3
	s_ashr_i32 s71, s15, 31
	s_add_co_i32 s14, s14, s2
	s_mov_b32 s15, s3
	s_add_nc_u64 s[22:23], s[22:23], s[0:1]
	s_lshl_b64 s[48:49], s[48:49], 1
	s_lshl_b64 s[50:51], s[50:51], 1
	;; [unrolled: 1-line block ×3, first 2 shown]
	s_mov_b32 s68, 0
	s_branch .LBB79_3
.LBB79_2:                               ;   in Loop: Header=BB79_3 Depth=1
	v_add_nc_u32_e32 v0, s66, v0
	s_delay_alu instid0(VALU_DEP_1)
	v_cmp_le_i32_e32 vcc_lo, s33, v0
	s_or_b32 s68, vcc_lo, s68
	s_wait_xcnt 0x0
	s_and_not1_b32 exec_lo, exec_lo, s68
	s_cbranch_execz .LBB79_37
.LBB79_3:                               ; =>This Loop Header: Depth=1
                                        ;     Child Loop BB79_8 Depth 2
                                        ;       Child Loop BB79_17 Depth 3
                                        ;         Child Loop BB79_24 Depth 4
                                        ;           Child Loop BB79_31 Depth 5
	v_sub_nc_u32_e32 v1, 0, v0
	s_mov_b32 s69, -1
	v_dual_mov_b32 v9, v3 :: v_dual_ashrrev_i32 v6, 31, v0
	s_delay_alu instid0(VALU_DEP_2) | instskip(NEXT) | instid1(VALU_DEP_1)
	v_max_i32_e32 v2, v0, v1
	v_mul_u64_e32 v[4:5], s[52:53], v[2:3]
	s_delay_alu instid0(VALU_DEP_1) | instskip(SKIP_1) | instid1(VALU_DEP_2)
	v_mul_lo_u32 v1, v5, s81
	v_add_nc_u32_e32 v4, 1, v5
	v_sub_nc_u32_e32 v1, v2, v1
	s_delay_alu instid0(VALU_DEP_1) | instskip(SKIP_1) | instid1(VALU_DEP_4)
	v_subrev_nc_u32_e32 v7, s81, v1
	v_cmp_le_u32_e32 vcc_lo, s81, v1
	v_cndmask_b32_e32 v4, v5, v4, vcc_lo
	s_delay_alu instid0(VALU_DEP_1) | instskip(NEXT) | instid1(VALU_DEP_1)
	v_dual_cndmask_b32 v1, v1, v7, vcc_lo :: v_dual_add_nc_u32 v5, 1, v4
	v_cmp_le_u32_e32 vcc_lo, s81, v1
	s_delay_alu instid0(VALU_DEP_2) | instskip(SKIP_1) | instid1(VALU_DEP_2)
	v_dual_cndmask_b32 v1, v4, v5, vcc_lo :: v_dual_bitop2_b32 v7, s67, v6 bitop3:0x14
	v_mul_u64_e32 v[4:5], s[56:57], v[2:3]
	v_xor_b32_e32 v1, v1, v7
	s_delay_alu instid0(VALU_DEP_1) | instskip(NEXT) | instid1(VALU_DEP_3)
	v_sub_nc_u32_e32 v7, v1, v7
	v_mul_lo_u32 v4, v5, s84
	s_delay_alu instid0(VALU_DEP_1) | instskip(NEXT) | instid1(VALU_DEP_1)
	v_dual_sub_nc_u32 v1, 0, v7 :: v_dual_sub_nc_u32 v4, v2, v4
	v_max_i32_e32 v8, v7, v1
	s_delay_alu instid0(VALU_DEP_2) | instskip(NEXT) | instid1(VALU_DEP_2)
	v_cmp_le_u32_e64 s0, s84, v4
	v_mul_u64_e32 v[10:11], s[54:55], v[8:9]
	v_subrev_nc_u32_e32 v9, s84, v4
	s_delay_alu instid0(VALU_DEP_2) | instskip(NEXT) | instid1(VALU_DEP_1)
	v_mul_lo_u32 v1, v11, s82
	v_sub_nc_u32_e32 v1, v8, v1
	v_mul_lo_u32 v8, v7, s9
	s_delay_alu instid0(VALU_DEP_2) | instskip(SKIP_1) | instid1(VALU_DEP_2)
	v_subrev_nc_u32_e32 v2, s82, v1
	v_cmp_le_u32_e32 vcc_lo, s82, v1
	v_dual_cndmask_b32 v2, v1, v2, vcc_lo :: v_dual_cndmask_b32 v1, v4, v9, s0
	s_delay_alu instid0(VALU_DEP_4) | instskip(SKIP_1) | instid1(VALU_DEP_2)
	v_sub_nc_u32_e32 v4, v0, v8
	s_and_not1_b32 vcc_lo, exec_lo, s77
	v_cmp_le_u32_e64 s2, s82, v2
	s_delay_alu instid0(VALU_DEP_3)
	v_cmp_le_u32_e64 s1, s84, v1
                                        ; implicit-def: $vgpr1
	s_cbranch_vccnz .LBB79_5
; %bb.4:                                ;   in Loop: Header=BB79_3 Depth=1
	v_ashrrev_i32_e32 v1, 31, v4
	s_mov_b32 s69, 0
.LBB79_5:                               ;   in Loop: Header=BB79_3 Depth=1
	v_add_nc_u32_e32 v8, 1, v5
	s_and_not1_b32 vcc_lo, exec_lo, s69
	v_dual_ashrrev_i32 v10, 31, v7 :: v_dual_bitop2_b32 v11, s85, v6 bitop3:0x14
	v_mov_b64_e32 v[6:7], 0
	s_delay_alu instid0(VALU_DEP_3) | instskip(SKIP_1) | instid1(VALU_DEP_1)
	v_cndmask_b32_e64 v5, v5, v8, s0
	v_subrev_nc_u32_e32 v8, s82, v2
	v_dual_add_nc_u32 v9, 1, v5 :: v_dual_cndmask_b32 v2, v2, v8, s2
	s_delay_alu instid0(VALU_DEP_1) | instskip(NEXT) | instid1(VALU_DEP_1)
	v_dual_cndmask_b32 v5, v5, v9, s1 :: v_dual_bitop2_b32 v2, v2, v10 bitop3:0x14
	v_dual_sub_nc_u32 v8, v2, v10 :: v_dual_bitop2_b32 v5, v5, v11 bitop3:0x14
	s_delay_alu instid0(VALU_DEP_1)
	v_sub_nc_u32_e32 v5, v5, v11
	s_cbranch_vccnz .LBB79_33
; %bb.6:                                ;   in Loop: Header=BB79_3 Depth=1
	v_mad_nc_u64_u32 v[10:11], s48, v4, s[22:23]
	s_delay_alu instid0(VALU_DEP_2) | instskip(SKIP_3) | instid1(VALU_DEP_4)
	v_dual_ashrrev_i32 v1, 31, v4 :: v_dual_add_nc_u32 v9, s28, v5
	v_mov_b64_e32 v[6:7], 0
	v_add_nc_u32_e32 v22, s29, v8
	s_mov_b32 s69, 0
	v_mad_u32 v2, s49, v4, v11
	s_delay_alu instid0(VALU_DEP_1)
	v_mad_u32 v11, s48, v1, v2
	s_branch .LBB79_8
.LBB79_7:                               ;   in Loop: Header=BB79_8 Depth=2
	v_add_nc_u64_e32 v[10:11], s[6:7], v[10:11]
	s_add_co_i32 s69, s69, 1
	s_delay_alu instid0(SALU_CYCLE_1)
	s_cmp_eq_u32 s69, s30
	s_cbranch_scc1 .LBB79_33
.LBB79_8:                               ;   Parent Loop BB79_3 Depth=1
                                        ; =>  This Loop Header: Depth=2
                                        ;       Child Loop BB79_17 Depth 3
                                        ;         Child Loop BB79_24 Depth 4
                                        ;           Child Loop BB79_31 Depth 5
	s_mul_i32 s0, s16, s69
	s_mov_b32 s88, -1
	s_sub_co_i32 s73, s19, s0
	s_mov_b32 s87, 0
	s_cmp_gt_i32 s73, -1
                                        ; implicit-def: $sgpr2
                                        ; implicit-def: $sgpr1
                                        ; implicit-def: $sgpr0
                                        ; implicit-def: $sgpr72
	s_cbranch_scc1 .LBB79_12
; %bb.9:                                ;   in Loop: Header=BB79_8 Depth=2
	s_and_not1_b32 vcc_lo, exec_lo, s88
	s_cbranch_vccz .LBB79_13
.LBB79_10:                              ;   in Loop: Header=BB79_8 Depth=2
	s_and_not1_b32 vcc_lo, exec_lo, s87
	s_mov_b32 s73, 1
	s_cbranch_vccz .LBB79_14
; %bb.11:                               ;   in Loop: Header=BB79_8 Depth=2
	s_and_not1_b32 vcc_lo, exec_lo, s78
	s_cbranch_vccz .LBB79_15
	s_branch .LBB79_7
.LBB79_12:                              ;   in Loop: Header=BB79_8 Depth=2
	s_abs_i32 s2, s73
	s_delay_alu instid0(SALU_CYCLE_1) | instskip(NEXT) | instid1(SALU_CYCLE_1)
	s_mul_u64 s[0:1], s[2:3], s[58:59]
	s_mul_i32 s0, s1, s74
	s_delay_alu instid0(SALU_CYCLE_1) | instskip(SKIP_4) | instid1(SALU_CYCLE_1)
	s_sub_co_i32 s0, s2, s0
	s_ashr_i32 s2, s73, 31
	s_sub_co_i32 s72, s0, s74
	s_cmp_ge_u32 s0, s74
	s_cselect_b32 s87, s72, s0
	s_sub_co_i32 s88, s87, s74
	s_cmp_ge_u32 s87, s74
	s_cselect_b32 s87, s88, s87
	s_delay_alu instid0(SALU_CYCLE_1) | instskip(NEXT) | instid1(SALU_CYCLE_1)
	s_xor_b32 s87, s87, s2
	s_sub_co_i32 s87, s87, s2
	s_delay_alu instid0(SALU_CYCLE_1)
	s_cmp_lg_u32 s87, 0
	s_cselect_b32 s87, -1, 0
	s_cbranch_execnz .LBB79_10
.LBB79_13:                              ;   in Loop: Header=BB79_8 Depth=2
	s_abs_i32 s2, s73
	s_delay_alu instid0(SALU_CYCLE_1) | instskip(NEXT) | instid1(SALU_CYCLE_1)
	s_mul_u64 s[0:1], s[2:3], s[58:59]
	s_mul_i32 s0, s1, s74
	s_delay_alu instid0(SALU_CYCLE_1)
	s_sub_co_i32 s0, s2, s0
	s_ashr_i32 s2, s73, 31
	s_sub_co_i32 s72, s0, s74
	s_mov_b32 s73, 1
.LBB79_14:                              ;   in Loop: Header=BB79_8 Depth=2
	s_mov_b32 s73, 0
	s_and_not1_b32 vcc_lo, exec_lo, s78
	s_cbranch_vccnz .LBB79_7
.LBB79_15:                              ;   in Loop: Header=BB79_8 Depth=2
	s_xor_b32 s2, s2, s13
	s_add_co_i32 s87, s1, 1
	s_cmp_ge_u32 s0, s74
	v_mov_b64_e32 v[12:13], v[10:11]
	s_cselect_b32 s1, s87, s1
	s_cselect_b32 s0, s72, s0
	s_add_co_i32 s72, s1, 1
	s_cmp_ge_u32 s0, s74
	s_cselect_b32 s0, s72, s1
	s_mov_b32 s72, 0
	s_xor_b32 s0, s0, s2
	s_delay_alu instid0(SALU_CYCLE_1) | instskip(NEXT) | instid1(SALU_CYCLE_1)
	s_sub_co_i32 s0, s0, s2
	s_cmp_lt_i32 s0, s10
	s_cselect_b32 s2, s73, 0
	s_ashr_i32 s1, s0, 31
	s_delay_alu instid0(SALU_CYCLE_1) | instskip(NEXT) | instid1(SALU_CYCLE_1)
	s_mul_u64 s[0:1], s[64:65], s[0:1]
	s_add_nc_u64 s[0:1], s[62:63], s[0:1]
	s_branch .LBB79_17
.LBB79_16:                              ;   in Loop: Header=BB79_17 Depth=3
	v_add_nc_u64_e32 v[12:13], s[20:21], v[12:13]
	s_add_co_i32 s72, s72, 1
	s_delay_alu instid0(SALU_CYCLE_1)
	s_cmp_eq_u32 s72, s31
	s_cbranch_scc1 .LBB79_7
.LBB79_17:                              ;   Parent Loop BB79_3 Depth=1
                                        ;     Parent Loop BB79_8 Depth=2
                                        ; =>    This Loop Header: Depth=3
                                        ;         Child Loop BB79_24 Depth 4
                                        ;           Child Loop BB79_31 Depth 5
	s_mul_i32 s73, s17, s72
	s_mov_b32 s87, exec_lo
	v_subrev_nc_u32_e32 v15, s73, v9
	s_delay_alu instid0(VALU_DEP_1)
	v_cmp_gt_i32_e64 s73, 0, v15
	v_dual_ashrrev_i32 v14, 31, v15 :: v_dual_sub_nc_u32 v16, 0, v15
	v_cmpx_lt_i32_e32 -1, v15
	s_cbranch_execnz .LBB79_20
; %bb.18:                               ;   in Loop: Header=BB79_17 Depth=3
	s_or_b32 exec_lo, exec_lo, s87
	v_mov_b32_e32 v17, 1
	s_and_saveexec_b32 s87, s73
	s_cbranch_execnz .LBB79_21
.LBB79_19:                              ;   in Loop: Header=BB79_17 Depth=3
	s_or_b32 exec_lo, exec_lo, s87
	s_delay_alu instid0(SALU_CYCLE_1)
	s_and_not1_b32 vcc_lo, exec_lo, s79
	s_cbranch_vccz .LBB79_22
	s_branch .LBB79_16
.LBB79_20:                              ;   in Loop: Header=BB79_17 Depth=3
	s_delay_alu instid0(VALU_DEP_2) | instskip(SKIP_1) | instid1(VALU_DEP_1)
	v_max_i32_e32 v2, v15, v16
	s_and_not1_b32 s73, s73, exec_lo
	v_mul_u64_e32 v[18:19], s[60:61], v[2:3]
	s_delay_alu instid0(VALU_DEP_1) | instskip(NEXT) | instid1(VALU_DEP_1)
	v_mul_lo_u32 v17, v19, s75
	v_sub_nc_u32_e32 v2, v2, v17
	s_delay_alu instid0(VALU_DEP_1) | instskip(SKIP_1) | instid1(VALU_DEP_2)
	v_subrev_nc_u32_e32 v17, s75, v2
	v_cmp_le_u32_e32 vcc_lo, s75, v2
	v_cndmask_b32_e32 v2, v2, v17, vcc_lo
	s_delay_alu instid0(VALU_DEP_1) | instskip(SKIP_1) | instid1(VALU_DEP_2)
	v_subrev_nc_u32_e32 v17, s75, v2
	v_cmp_le_u32_e32 vcc_lo, s75, v2
	v_cndmask_b32_e32 v2, v2, v17, vcc_lo
	s_delay_alu instid0(VALU_DEP_1) | instskip(NEXT) | instid1(VALU_DEP_1)
	v_xor_b32_e32 v2, v2, v14
	v_sub_nc_u32_e32 v2, v2, v14
	s_delay_alu instid0(VALU_DEP_1) | instskip(SKIP_1) | instid1(SALU_CYCLE_1)
	v_cmp_ne_u32_e32 vcc_lo, 0, v2
	s_and_b32 s88, vcc_lo, exec_lo
	s_or_b32 s73, s73, s88
	s_or_b32 exec_lo, exec_lo, s87
	v_mov_b32_e32 v17, 1
	s_and_saveexec_b32 s87, s73
	s_cbranch_execz .LBB79_19
.LBB79_21:                              ;   in Loop: Header=BB79_17 Depth=3
	v_mov_b32_e32 v17, 0
	s_or_b32 exec_lo, exec_lo, s87
	s_delay_alu instid0(SALU_CYCLE_1)
	s_and_not1_b32 vcc_lo, exec_lo, s79
	s_cbranch_vccnz .LBB79_16
.LBB79_22:                              ;   in Loop: Header=BB79_17 Depth=3
	v_max_i32_e32 v2, v15, v16
	s_mov_b32 s73, 0
	s_delay_alu instid0(VALU_DEP_1) | instskip(NEXT) | instid1(VALU_DEP_1)
	v_mul_u64_e32 v[18:19], s[60:61], v[2:3]
	v_mul_lo_u32 v15, v19, s75
	s_delay_alu instid0(VALU_DEP_1) | instskip(SKIP_1) | instid1(VALU_DEP_2)
	v_sub_nc_u32_e32 v2, v2, v15
	v_add_nc_u32_e32 v15, 1, v19
	v_cmp_le_u32_e32 vcc_lo, s75, v2
	s_delay_alu instid0(VALU_DEP_2) | instskip(SKIP_1) | instid1(VALU_DEP_1)
	v_cndmask_b32_e32 v15, v19, v15, vcc_lo
	v_subrev_nc_u32_e32 v16, s75, v2
	v_dual_cndmask_b32 v2, v2, v16, vcc_lo :: v_dual_add_nc_u32 v16, 1, v15
	s_delay_alu instid0(VALU_DEP_1) | instskip(NEXT) | instid1(VALU_DEP_2)
	v_cmp_le_u32_e32 vcc_lo, s75, v2
	v_dual_cndmask_b32 v2, v15, v16, vcc_lo :: v_dual_bitop2_b32 v14, s70, v14 bitop3:0x14
	s_delay_alu instid0(VALU_DEP_1) | instskip(NEXT) | instid1(VALU_DEP_1)
	v_xor_b32_e32 v2, v2, v14
	v_sub_nc_u32_e32 v2, v2, v14
	s_delay_alu instid0(VALU_DEP_1) | instskip(SKIP_2) | instid1(VALU_DEP_3)
	v_mad_nc_u64_u32 v[14:15], s38, v2, s[0:1]
	v_cmp_gt_i32_e32 vcc_lo, s11, v2
	v_ashrrev_i32_e32 v16, 31, v2
	v_mad_u32 v15, s39, v2, v15
	v_cndmask_b32_e32 v2, 0, v17, vcc_lo
	s_delay_alu instid0(VALU_DEP_1) | instskip(NEXT) | instid1(VALU_DEP_3)
	v_and_b32_e32 v23, s2, v2
	v_mad_u32 v15, s38, v16, v15
	v_mov_b64_e32 v[16:17], v[12:13]
	s_branch .LBB79_24
.LBB79_23:                              ;   in Loop: Header=BB79_24 Depth=4
	v_add_nc_u64_e32 v[16:17], s[50:51], v[16:17]
	s_add_co_i32 s73, s73, 1
	s_delay_alu instid0(SALU_CYCLE_1)
	s_cmp_eq_u32 s73, s76
	s_cbranch_scc1 .LBB79_16
.LBB79_24:                              ;   Parent Loop BB79_3 Depth=1
                                        ;     Parent Loop BB79_8 Depth=2
                                        ;       Parent Loop BB79_17 Depth=3
                                        ; =>      This Loop Header: Depth=4
                                        ;           Child Loop BB79_31 Depth 5
	s_mul_i32 s87, s18, s73
	s_delay_alu instid0(SALU_CYCLE_1) | instskip(NEXT) | instid1(VALU_DEP_1)
	v_subrev_nc_u32_e32 v2, s87, v22
	v_dual_sub_nc_u32 v19, 0, v2 :: v_dual_ashrrev_i32 v18, 31, v2
	v_cmp_gt_i32_e64 s87, 0, v2
	v_cmp_lt_i32_e32 vcc_lo, -1, v2
	s_delay_alu instid0(VALU_DEP_3)
	v_max_i32_e32 v2, v2, v19
	s_and_saveexec_b32 s88, vcc_lo
	s_cbranch_execnz .LBB79_27
; %bb.25:                               ;   in Loop: Header=BB79_24 Depth=4
	s_or_b32 exec_lo, exec_lo, s88
	v_mov_b32_e32 v20, 1
	s_and_saveexec_b32 s88, s87
	s_cbranch_execnz .LBB79_28
.LBB79_26:                              ;   in Loop: Header=BB79_24 Depth=4
	s_or_b32 exec_lo, exec_lo, s88
	s_delay_alu instid0(SALU_CYCLE_1)
	s_and_not1_b32 vcc_lo, exec_lo, s80
	s_cbranch_vccz .LBB79_29
	s_branch .LBB79_23
.LBB79_27:                              ;   in Loop: Header=BB79_24 Depth=4
	s_delay_alu instid0(VALU_DEP_1) | instskip(SKIP_1) | instid1(VALU_DEP_1)
	v_mul_u64_e32 v[20:21], s[14:15], v[2:3]
	s_and_not1_b32 s87, s87, exec_lo
	v_mul_lo_u32 v19, v21, s86
	s_delay_alu instid0(VALU_DEP_1) | instskip(NEXT) | instid1(VALU_DEP_1)
	v_sub_nc_u32_e32 v19, v2, v19
	v_subrev_nc_u32_e32 v20, s86, v19
	v_cmp_le_u32_e32 vcc_lo, s86, v19
	s_delay_alu instid0(VALU_DEP_2) | instskip(NEXT) | instid1(VALU_DEP_1)
	v_cndmask_b32_e32 v19, v19, v20, vcc_lo
	v_subrev_nc_u32_e32 v20, s86, v19
	v_cmp_le_u32_e32 vcc_lo, s86, v19
	s_delay_alu instid0(VALU_DEP_2) | instskip(NEXT) | instid1(VALU_DEP_1)
	v_cndmask_b32_e32 v19, v19, v20, vcc_lo
	v_xor_b32_e32 v19, v19, v18
	s_delay_alu instid0(VALU_DEP_1) | instskip(NEXT) | instid1(VALU_DEP_1)
	v_sub_nc_u32_e32 v19, v19, v18
	v_cmp_ne_u32_e32 vcc_lo, 0, v19
	s_and_b32 s89, vcc_lo, exec_lo
	s_delay_alu instid0(SALU_CYCLE_1)
	s_or_b32 s87, s87, s89
	s_or_b32 exec_lo, exec_lo, s88
	v_mov_b32_e32 v20, 1
	s_and_saveexec_b32 s88, s87
	s_cbranch_execz .LBB79_26
.LBB79_28:                              ;   in Loop: Header=BB79_24 Depth=4
	v_mov_b32_e32 v20, 0
	s_or_b32 exec_lo, exec_lo, s88
	s_delay_alu instid0(SALU_CYCLE_1)
	s_and_not1_b32 vcc_lo, exec_lo, s80
	s_cbranch_vccnz .LBB79_23
.LBB79_29:                              ;   in Loop: Header=BB79_24 Depth=4
	v_mul_u64_e32 v[24:25], s[14:15], v[2:3]
	s_mov_b32 s87, s8
	v_xor_b32_e32 v18, s71, v18
	s_delay_alu instid0(VALU_DEP_2) | instskip(NEXT) | instid1(VALU_DEP_1)
	v_mul_lo_u32 v19, v25, s86
	v_dual_sub_nc_u32 v2, v2, v19 :: v_dual_add_nc_u32 v19, 1, v25
	s_delay_alu instid0(VALU_DEP_1) | instskip(SKIP_1) | instid1(VALU_DEP_2)
	v_subrev_nc_u32_e32 v21, s86, v2
	v_cmp_le_u32_e32 vcc_lo, s86, v2
	v_dual_cndmask_b32 v19, v25, v19 :: v_dual_cndmask_b32 v2, v2, v21
	s_delay_alu instid0(VALU_DEP_1) | instskip(NEXT) | instid1(VALU_DEP_2)
	v_add_nc_u32_e32 v21, 1, v19
	v_cmp_le_u32_e32 vcc_lo, s86, v2
	s_delay_alu instid0(VALU_DEP_2) | instskip(NEXT) | instid1(VALU_DEP_1)
	v_cndmask_b32_e32 v2, v19, v21, vcc_lo
	v_xor_b32_e32 v2, v2, v18
	s_delay_alu instid0(VALU_DEP_1) | instskip(NEXT) | instid1(VALU_DEP_1)
	v_sub_nc_u32_e32 v2, v2, v18
	v_cmp_gt_i32_e32 vcc_lo, s12, v2
	v_cndmask_b32_e32 v20, 0, v20, vcc_lo
	s_delay_alu instid0(VALU_DEP_1) | instskip(SKIP_1) | instid1(VALU_DEP_2)
	v_and_b32_e32 v20, v23, v20
	v_mad_nc_u64_u32 v[18:19], s44, v2, v[14:15]
	v_and_b32_e32 v20, 1, v20
	s_delay_alu instid0(VALU_DEP_1) | instskip(SKIP_1) | instid1(VALU_DEP_4)
	v_cmp_eq_u32_e32 vcc_lo, 1, v20
	v_mov_b64_e32 v[20:21], v[16:17]
	v_mad_u32 v19, s45, v2, v19
	v_ashrrev_i32_e32 v2, 31, v2
	s_delay_alu instid0(VALU_DEP_1)
	v_mad_u32 v19, s44, v2, v19
	s_branch .LBB79_31
.LBB79_30:                              ;   in Loop: Header=BB79_31 Depth=5
	s_wait_xcnt 0x0
	s_or_b32 exec_lo, exec_lo, s88
	v_add_nc_u64_e32 v[20:21], s[34:35], v[20:21]
	s_delay_alu instid0(VALU_DEP_2) | instskip(SKIP_1) | instid1(SALU_CYCLE_1)
	v_add_nc_u64_e32 v[18:19], s[46:47], v[18:19]
	s_add_co_i32 s87, s87, -1
	s_cmp_eq_u32 s87, 0
	s_cbranch_scc1 .LBB79_23
.LBB79_31:                              ;   Parent Loop BB79_3 Depth=1
                                        ;     Parent Loop BB79_8 Depth=2
                                        ;       Parent Loop BB79_17 Depth=3
                                        ;         Parent Loop BB79_24 Depth=4
                                        ; =>        This Inner Loop Header: Depth=5
	s_and_saveexec_b32 s88, vcc_lo
	s_cbranch_execz .LBB79_30
; %bb.32:                               ;   in Loop: Header=BB79_31 Depth=5
	global_load_u16 v2, v[20:21], off
	global_load_u16 v24, v[18:19], off
	s_wait_loadcnt 0x0
	v_dual_lshlrev_b32 v2, 16, v2 :: v_dual_lshlrev_b32 v26, 16, v24
	s_delay_alu instid0(VALU_DEP_1) | instskip(NEXT) | instid1(VALU_DEP_2)
	v_cvt_f64_f32_e32 v[24:25], v2
	v_cvt_f64_f32_e32 v[26:27], v26
	s_delay_alu instid0(VALU_DEP_1)
	v_fmac_f64_e32 v[6:7], v[26:27], v[24:25]
	s_branch .LBB79_30
.LBB79_33:                              ;   in Loop: Header=BB79_3 Depth=1
	s_delay_alu instid0(VALU_DEP_2) | instskip(SKIP_2) | instid1(VALU_DEP_1)
	v_ashrrev_i32_e32 v9, 31, v8
	s_and_b32 vcc_lo, exec_lo, s83
	s_mov_b32 s0, -1
	v_mul_u64_e32 v[8:9], s[40:41], v[8:9]
	s_delay_alu instid0(VALU_DEP_1) | instskip(NEXT) | instid1(VALU_DEP_1)
	v_mad_nc_u64_u32 v[8:9], s42, v5, v[8:9]
	v_mad_u32 v2, s43, v5, v9
	v_ashrrev_i32_e32 v5, 31, v5
	s_delay_alu instid0(VALU_DEP_1) | instskip(NEXT) | instid1(VALU_DEP_1)
	v_mad_u32 v9, s42, v5, v2
	v_mad_nc_u64_u32 v[8:9], v4, s36, v[8:9]
	s_delay_alu instid0(VALU_DEP_1) | instskip(NEXT) | instid1(VALU_DEP_1)
	v_mad_u32 v1, v1, s36, v9
	v_mad_u32 v9, v4, s37, v1
	s_cbranch_vccz .LBB79_35
; %bb.34:                               ;   in Loop: Header=BB79_3 Depth=1
	s_delay_alu instid0(VALU_DEP_1) | instskip(SKIP_3) | instid1(VALU_DEP_1)
	v_lshl_add_u64 v[4:5], v[8:9], 1, s[4:5]
	global_load_u16 v1, v[4:5], off
	s_wait_loadcnt 0x0
	v_lshlrev_b32_e32 v1, 16, v1
	v_cvt_f64_f32_e32 v[10:11], v1
	s_delay_alu instid0(VALU_DEP_1) | instskip(NEXT) | instid1(VALU_DEP_1)
	v_mul_f64_e32 v[10:11], s[26:27], v[10:11]
	v_fmac_f64_e32 v[10:11], s[24:25], v[6:7]
	s_delay_alu instid0(VALU_DEP_1) | instskip(NEXT) | instid1(VALU_DEP_1)
	v_cvt_f32_f64_e32 v1, v[10:11]
	v_and_b32_e32 v2, 0x7f800000, v1
	v_and_b32_e32 v10, 0xffff, v1
	v_lshrrev_b32_e32 v1, 16, v1
	s_delay_alu instid0(VALU_DEP_3) | instskip(NEXT) | instid1(VALU_DEP_3)
	v_cmp_eq_u32_e32 vcc_lo, 0x7f800000, v2
	v_cmp_ne_u32_e64 s0, 0, v10
	s_and_b32 s0, vcc_lo, s0
	s_delay_alu instid0(SALU_CYCLE_1) | instskip(SKIP_1) | instid1(VALU_DEP_1)
	v_cndmask_b32_e64 v2, 0, 1, s0
	s_mov_b32 s0, 0
	v_or_b32_e32 v1, v1, v2
	global_store_b16 v[4:5], v1, off
.LBB79_35:                              ;   in Loop: Header=BB79_3 Depth=1
	s_and_not1_b32 vcc_lo, exec_lo, s0
	s_cbranch_vccnz .LBB79_2
; %bb.36:                               ;   in Loop: Header=BB79_3 Depth=1
	s_wait_xcnt 0x0
	v_cvt_f32_f64_e32 v1, v[6:7]
	s_delay_alu instid0(VALU_DEP_1) | instskip(SKIP_2) | instid1(VALU_DEP_3)
	v_and_b32_e32 v2, 0x7f800000, v1
	v_and_b32_e32 v4, 0xffff, v1
	v_lshrrev_b32_e32 v1, 16, v1
	v_cmp_eq_u32_e32 vcc_lo, 0x7f800000, v2
	s_delay_alu instid0(VALU_DEP_3) | instskip(SKIP_2) | instid1(SALU_CYCLE_1)
	v_cmp_ne_u32_e64 s0, 0, v4
	v_lshl_add_u64 v[4:5], v[8:9], 1, s[4:5]
	s_and_b32 s0, vcc_lo, s0
	v_cndmask_b32_e64 v2, 0, 1, s0
	s_delay_alu instid0(VALU_DEP_1)
	v_or_b32_e32 v1, v1, v2
	global_store_b16 v[4:5], v1, off
	s_branch .LBB79_2
.LBB79_37:
	s_endpgm
	.section	.rodata,"a",@progbits
	.p2align	6, 0x0
	.amdhsa_kernel naive_conv_ab_nonpacked_bwd_ndhwc_ushort_double_ushort
		.amdhsa_group_segment_fixed_size 0
		.amdhsa_private_segment_fixed_size 0
		.amdhsa_kernarg_size 528
		.amdhsa_user_sgpr_count 2
		.amdhsa_user_sgpr_dispatch_ptr 0
		.amdhsa_user_sgpr_queue_ptr 0
		.amdhsa_user_sgpr_kernarg_segment_ptr 1
		.amdhsa_user_sgpr_dispatch_id 0
		.amdhsa_user_sgpr_kernarg_preload_length 0
		.amdhsa_user_sgpr_kernarg_preload_offset 0
		.amdhsa_user_sgpr_private_segment_size 0
		.amdhsa_wavefront_size32 1
		.amdhsa_uses_dynamic_stack 0
		.amdhsa_enable_private_segment 0
		.amdhsa_system_sgpr_workgroup_id_x 1
		.amdhsa_system_sgpr_workgroup_id_y 0
		.amdhsa_system_sgpr_workgroup_id_z 0
		.amdhsa_system_sgpr_workgroup_info 0
		.amdhsa_system_vgpr_workitem_id 0
		.amdhsa_next_free_vgpr 28
		.amdhsa_next_free_sgpr 90
		.amdhsa_named_barrier_count 0
		.amdhsa_reserve_vcc 1
		.amdhsa_float_round_mode_32 0
		.amdhsa_float_round_mode_16_64 0
		.amdhsa_float_denorm_mode_32 3
		.amdhsa_float_denorm_mode_16_64 3
		.amdhsa_fp16_overflow 0
		.amdhsa_memory_ordered 1
		.amdhsa_forward_progress 1
		.amdhsa_inst_pref_size 24
		.amdhsa_round_robin_scheduling 0
		.amdhsa_exception_fp_ieee_invalid_op 0
		.amdhsa_exception_fp_denorm_src 0
		.amdhsa_exception_fp_ieee_div_zero 0
		.amdhsa_exception_fp_ieee_overflow 0
		.amdhsa_exception_fp_ieee_underflow 0
		.amdhsa_exception_fp_ieee_inexact 0
		.amdhsa_exception_int_div_zero 0
	.end_amdhsa_kernel
	.text
.Lfunc_end79:
	.size	naive_conv_ab_nonpacked_bwd_ndhwc_ushort_double_ushort, .Lfunc_end79-naive_conv_ab_nonpacked_bwd_ndhwc_ushort_double_ushort
                                        ; -- End function
	.set naive_conv_ab_nonpacked_bwd_ndhwc_ushort_double_ushort.num_vgpr, 28
	.set naive_conv_ab_nonpacked_bwd_ndhwc_ushort_double_ushort.num_agpr, 0
	.set naive_conv_ab_nonpacked_bwd_ndhwc_ushort_double_ushort.numbered_sgpr, 90
	.set naive_conv_ab_nonpacked_bwd_ndhwc_ushort_double_ushort.num_named_barrier, 0
	.set naive_conv_ab_nonpacked_bwd_ndhwc_ushort_double_ushort.private_seg_size, 0
	.set naive_conv_ab_nonpacked_bwd_ndhwc_ushort_double_ushort.uses_vcc, 1
	.set naive_conv_ab_nonpacked_bwd_ndhwc_ushort_double_ushort.uses_flat_scratch, 0
	.set naive_conv_ab_nonpacked_bwd_ndhwc_ushort_double_ushort.has_dyn_sized_stack, 0
	.set naive_conv_ab_nonpacked_bwd_ndhwc_ushort_double_ushort.has_recursion, 0
	.set naive_conv_ab_nonpacked_bwd_ndhwc_ushort_double_ushort.has_indirect_call, 0
	.section	.AMDGPU.csdata,"",@progbits
; Kernel info:
; codeLenInByte = 2964
; TotalNumSgprs: 92
; NumVgprs: 28
; ScratchSize: 0
; MemoryBound: 0
; FloatMode: 240
; IeeeMode: 1
; LDSByteSize: 0 bytes/workgroup (compile time only)
; SGPRBlocks: 0
; VGPRBlocks: 1
; NumSGPRsForWavesPerEU: 92
; NumVGPRsForWavesPerEU: 28
; NamedBarCnt: 0
; Occupancy: 16
; WaveLimiterHint : 1
; COMPUTE_PGM_RSRC2:SCRATCH_EN: 0
; COMPUTE_PGM_RSRC2:USER_SGPR: 2
; COMPUTE_PGM_RSRC2:TRAP_HANDLER: 0
; COMPUTE_PGM_RSRC2:TGID_X_EN: 1
; COMPUTE_PGM_RSRC2:TGID_Y_EN: 0
; COMPUTE_PGM_RSRC2:TGID_Z_EN: 0
; COMPUTE_PGM_RSRC2:TIDIG_COMP_CNT: 0
	.text
	.protected	naive_conv_ab_packed_wrw_ncdhw_float_double_float ; -- Begin function naive_conv_ab_packed_wrw_ncdhw_float_double_float
	.globl	naive_conv_ab_packed_wrw_ncdhw_float_double_float
	.p2align	8
	.type	naive_conv_ab_packed_wrw_ncdhw_float_double_float,@function
naive_conv_ab_packed_wrw_ncdhw_float_double_float: ; @naive_conv_ab_packed_wrw_ncdhw_float_double_float
; %bb.0:
	s_clause 0x2
	s_load_b512 s[4:19], s[0:1], 0xb8
	s_load_b64 s[48:49], s[0:1], 0x108
	s_load_b128 s[28:31], s[0:1], 0xf8
	s_bfe_u32 s2, ttmp6, 0x4000c
	s_and_b32 s3, ttmp6, 15
	s_add_co_i32 s2, s2, 1
	s_getreg_b32 s20, hwreg(HW_REG_IB_STS2, 6, 4)
	s_mul_i32 s2, ttmp9, s2
	s_delay_alu instid0(SALU_CYCLE_1)
	s_add_co_i32 s3, s3, s2
	s_cmp_eq_u32 s20, 0
	s_mov_b32 s20, exec_lo
	s_cselect_b32 s40, ttmp9, s3
	s_mov_b32 s3, 0
	s_wait_kmcnt 0x0
	s_abs_i32 s35, s8
	s_delay_alu instid0(SALU_CYCLE_1) | instskip(SKIP_1) | instid1(SALU_CYCLE_1)
	s_cvt_f32_u32 s2, s35
	s_mul_i32 s55, s48, s31
	s_mul_i32 s54, s55, s30
	s_delay_alu instid0(SALU_CYCLE_1) | instskip(SKIP_2) | instid1(TRANS32_DEP_1)
	v_rcp_iflag_f32_e32 v1, s2
	s_mul_i32 s33, s54, s9
	v_nop
	v_readfirstlane_b32 s2, v1
	v_cmpx_gt_i32_e64 s33, v0
	s_cbranch_execz .LBB80_21
; %bb.1:
	s_mul_f32 s2, s2, 0x4f7ffffe
	s_mov_b32 s37, s3
	s_ashr_i32 s38, s40, 31
	s_ashr_i32 s41, s8, 31
	s_cvt_u32_f32 s34, s2
	s_sub_co_i32 s2, 0, s35
	s_xor_b32 s42, s38, s41
	s_load_b256 s[20:27], s[0:1], 0x0
	s_mul_i32 s36, s2, s34
	s_abs_i32 s2, s40
	s_mul_hi_u32 s36, s34, s36
	s_mov_b32 s44, s9
	s_add_co_i32 s36, s34, s36
	s_mov_b32 s34, s4
	s_mul_u64 s[36:37], s[2:3], s[36:37]
	s_mul_i32 s71, s49, s9
	s_mul_i32 s36, s37, s35
	s_add_co_i32 s38, s37, 1
	s_sub_co_i32 s2, s2, s36
	s_mov_b32 s36, s5
	s_sub_co_i32 s39, s2, s35
	s_cmp_ge_u32 s2, s35
	v_mov_b32_e32 v3, 0
	s_cselect_b32 s37, s38, s37
	s_cselect_b32 s2, s39, s2
	s_add_co_i32 s39, s37, 1
	s_cmp_ge_u32 s2, s35
	s_mov_b32 s38, s6
	s_cselect_b32 s2, s39, s37
	s_ashr_i32 s35, s4, 31
	s_ashr_i32 s37, s5, 31
	s_xor_b32 s2, s2, s42
	s_ashr_i32 s39, s6, 31
	s_sub_co_i32 s46, s2, s42
	s_mul_u64 s[4:5], s[36:37], s[34:35]
	s_ashr_i32 s45, s9, 31
	s_mul_i32 s2, s46, s8
	s_mul_u64 s[4:5], s[4:5], s[38:39]
	s_ashr_i32 s47, s46, 31
	s_sub_co_i32 s50, s40, s2
	s_mov_b32 s40, s8
	s_mul_u64 s[52:53], s[4:5], s[44:45]
	s_ashr_i32 s5, s30, 31
	s_mov_b32 s4, s30
	s_mul_u64 s[56:57], s[46:47], s[40:41]
	s_ashr_i32 s41, s31, 31
	;; [unrolled: 3-line block ×3, first 2 shown]
	s_mov_b32 s42, s48
	s_ashr_i32 s51, s50, 31
	s_mul_u64 s[44:45], s[44:45], s[40:41]
	s_add_nc_u64 s[50:51], s[56:57], s[50:51]
	s_mul_u64 s[44:45], s[44:45], s[42:43]
	s_mul_u64 s[46:47], s[52:53], s[46:47]
	;; [unrolled: 1-line block ×3, first 2 shown]
	s_wait_kmcnt 0x0
	v_cmp_neq_f64_e64 s2, s[24:25], 1.0
	v_cmp_neq_f64_e64 s60, s[26:27], 0
	s_lshl_b64 s[52:53], s[46:47], 2
	s_lshl_b64 s[58:59], s[44:45], 2
	s_ashr_i32 s45, s10, 31
	s_ashr_i32 s47, s11, 31
	;; [unrolled: 1-line block ×3, first 2 shown]
	s_cmp_lt_i32 s7, 1
	s_add_nc_u64 s[20:21], s[20:21], s[52:53]
	s_cselect_b32 s6, -1, 0
	s_cmp_gt_i32 s10, 0
	s_mov_b32 s46, s11
	s_cselect_b32 s66, -1, 0
	s_cmp_gt_i32 s11, 0
	s_mov_b32 s56, s12
	s_cselect_b32 s67, -1, 0
	s_cmp_gt_i32 s12, 0
	s_add_nc_u64 s[22:23], s[22:23], s[58:59]
	s_cselect_b32 s68, -1, 0
	s_abs_i32 s69, s48
	s_abs_i32 s70, s31
	s_cvt_f32_u32 s44, s69
	s_clause 0x1
	s_load_b64 s[52:53], s[0:1], 0x20
	s_load_b32 s48, s[0:1], 0x11c
	s_wait_xcnt 0x0
	s_mul_i32 s0, s49, s8
	s_abs_i32 s74, s55
	v_rcp_iflag_f32_e32 v1, s44
	s_mov_b32 s44, s10
	s_cvt_f32_u32 s10, s70
	s_cvt_f32_u32 s9, s74
	s_abs_i32 s76, s30
	s_sub_co_i32 s11, 0, s70
	s_abs_i32 s77, s54
	v_nop
	v_readfirstlane_b32 s1, v1
	v_rcp_iflag_f32_e32 v1, s10
	s_or_b32 s73, s2, s60
	s_sub_co_i32 s10, 0, s69
	s_ashr_i32 s78, s55, 31
	s_mul_f32 s8, s1, 0x4f7ffffe
	s_ashr_i32 s79, s54, 31
	s_mul_u64 s[54:55], s[56:57], s[46:47]
	s_ashr_i32 s1, s0, 31
	s_cvt_u32_f32 s2, s8
	v_nop
	v_readfirstlane_b32 s8, v1
	v_rcp_iflag_f32_e32 v1, s9
	s_wait_kmcnt 0x0
	s_and_b32 s75, s48, 0xffff
	s_mul_i32 s10, s10, s2
	s_sub_co_i32 s48, 0, s76
	s_mul_f32 s8, s8, 0x4f7ffffe
	s_mul_hi_u32 s9, s2, s10
	s_cvt_f32_u32 s10, s76
	v_nop
	v_readfirstlane_b32 s30, v1
	s_cvt_u32_f32 s8, s8
	s_add_co_i32 s2, s2, s9
	v_rcp_iflag_f32_e32 v1, s10
	s_mul_u64 s[58:59], s[54:55], s[44:45]
	s_mul_i32 s11, s11, s8
	s_mul_f32 s10, s30, 0x4f7ffffe
	s_mul_hi_u32 s9, s8, s11
	s_cvt_f32_u32 s11, s77
	s_mul_u64 s[50:51], s[58:59], s[50:51]
	v_nop
	v_readfirstlane_b32 s30, v1
	s_cvt_u32_f32 s10, s10
	v_rcp_iflag_f32_e32 v1, s11
	s_lshl_b64 s[50:51], s[50:51], 2
	s_mul_u64 s[0:1], s[58:59], s[0:1]
	s_mul_f32 s11, s30, 0x4f7ffffe
	s_sub_co_i32 s30, 0, s74
	s_ashr_i32 s72, s71, 31
	s_mul_i32 s30, s30, s10
	s_cvt_u32_f32 s31, s11
	v_nop
	v_readfirstlane_b32 s11, v1
	s_mul_hi_u32 s30, s10, s30
	s_add_co_i32 s8, s8, s9
	s_mul_i32 s48, s48, s31
	s_add_co_i32 s10, s10, s30
	s_mul_f32 s49, s11, 0x4f7ffffe
	s_mul_hi_u32 s30, s31, s48
	s_mov_b32 s9, s3
	s_mov_b32 s11, s3
	s_cvt_u32_f32 s48, s49
	s_sub_co_i32 s49, 0, s77
	s_add_co_i32 s30, s31, s30
	s_mov_b32 s31, s3
	s_mul_i32 s49, s49, s48
	s_add_nc_u64 s[50:51], s[52:53], s[50:51]
	s_mul_hi_u32 s47, s48, s49
	s_mov_b32 s49, s3
	s_add_co_i32 s48, s48, s47
	s_lshl_b64 s[52:53], s[0:1], 2
	s_lshl_b64 s[54:55], s[54:55], 2
	;; [unrolled: 1-line block ×3, first 2 shown]
	s_sub_co_i32 s29, 0, s29
	s_mov_b32 s45, s3
	s_branch .LBB80_3
.LBB80_2:                               ;   in Loop: Header=BB80_3 Depth=1
	s_delay_alu instid0(VALU_DEP_1) | instskip(SKIP_1) | instid1(VALU_DEP_1)
	v_cvt_f32_f64_e32 v1, v[6:7]
	v_add_nc_u32_e32 v0, s75, v0
	v_cmp_le_i32_e32 vcc_lo, s33, v0
	s_or_b32 s45, vcc_lo, s45
	global_store_b32 v[4:5], v1, off
	s_wait_xcnt 0x0
	s_and_not1_b32 exec_lo, exec_lo, s45
	s_cbranch_execz .LBB80_21
.LBB80_3:                               ; =>This Loop Header: Depth=1
                                        ;     Child Loop BB80_8 Depth 2
                                        ;       Child Loop BB80_11 Depth 3
                                        ;         Child Loop BB80_14 Depth 4
                                        ;           Child Loop BB80_17 Depth 5
	v_sub_nc_u32_e32 v1, 0, v0
	s_mov_b32 s47, -1
	s_delay_alu instid0(VALU_DEP_1) | instskip(NEXT) | instid1(VALU_DEP_1)
	v_dual_ashrrev_i32 v16, 31, v0 :: v_dual_max_i32 v2, v0, v1
	v_mul_u64_e32 v[4:5], s[2:3], v[2:3]
	v_mul_u64_e32 v[6:7], s[10:11], v[2:3]
	s_delay_alu instid0(VALU_DEP_2) | instskip(NEXT) | instid1(VALU_DEP_2)
	v_mul_lo_u32 v1, v5, s69
	v_mul_lo_u32 v4, v7, s74
	v_add_nc_u32_e32 v6, 1, v5
	s_delay_alu instid0(VALU_DEP_2) | instskip(NEXT) | instid1(VALU_DEP_1)
	v_dual_sub_nc_u32 v1, v2, v1 :: v_dual_sub_nc_u32 v4, v2, v4
	v_cmp_le_u32_e32 vcc_lo, s69, v1
	v_add_nc_u32_e32 v8, 1, v7
	s_delay_alu instid0(VALU_DEP_3) | instskip(SKIP_3) | instid1(VALU_DEP_4)
	v_cmp_le_u32_e64 s0, s74, v4
	v_subrev_nc_u32_e32 v9, s74, v4
	v_cndmask_b32_e32 v5, v5, v6, vcc_lo
	v_subrev_nc_u32_e32 v6, s69, v1
	v_cndmask_b32_e64 v7, v7, v8, s0
	s_delay_alu instid0(VALU_DEP_2) | instskip(NEXT) | instid1(VALU_DEP_4)
	v_dual_cndmask_b32 v1, v1, v6, vcc_lo :: v_dual_bitop2_b32 v8, s43, v16 bitop3:0x14
	v_add_nc_u32_e32 v6, 1, v5
	s_delay_alu instid0(VALU_DEP_3) | instskip(NEXT) | instid1(VALU_DEP_3)
	v_dual_cndmask_b32 v4, v4, v9, s0 :: v_dual_add_nc_u32 v9, 1, v7
	v_cmp_le_u32_e32 vcc_lo, s69, v1
	s_delay_alu instid0(VALU_DEP_3) | instskip(NEXT) | instid1(VALU_DEP_3)
	v_dual_cndmask_b32 v1, v5, v6, vcc_lo :: v_dual_bitop2_b32 v10, s78, v16 bitop3:0x14
	v_cmp_le_u32_e32 vcc_lo, s74, v4
	s_delay_alu instid0(VALU_DEP_2) | instskip(NEXT) | instid1(VALU_DEP_1)
	v_dual_cndmask_b32 v4, v7, v9, vcc_lo :: v_dual_bitop2_b32 v1, v1, v8 bitop3:0x14
	v_dual_mov_b32 v9, v3 :: v_dual_sub_nc_u32 v1, v1, v8
	s_delay_alu instid0(VALU_DEP_2) | instskip(NEXT) | instid1(VALU_DEP_1)
	v_xor_b32_e32 v4, v4, v10
	v_sub_nc_u32_e32 v6, v4, v10
	v_mul_u64_e32 v[4:5], s[48:49], v[2:3]
	s_delay_alu instid0(VALU_DEP_4) | instskip(NEXT) | instid1(VALU_DEP_1)
	v_dual_mov_b32 v11, v3 :: v_dual_sub_nc_u32 v4, 0, v1
	v_dual_sub_nc_u32 v7, 0, v6 :: v_dual_max_i32 v8, v1, v4
	s_delay_alu instid0(VALU_DEP_1) | instskip(NEXT) | instid1(VALU_DEP_2)
	v_max_i32_e32 v10, v6, v7
	v_mul_u64_e32 v[12:13], s[8:9], v[8:9]
	v_mul_lo_u32 v4, v5, s77
	s_delay_alu instid0(VALU_DEP_1) | instskip(NEXT) | instid1(VALU_DEP_4)
	v_dual_sub_nc_u32 v2, v2, v4 :: v_dual_add_nc_u32 v4, 1, v5
	v_mul_u64_e32 v[14:15], s[30:31], v[10:11]
	s_delay_alu instid0(VALU_DEP_4) | instskip(NEXT) | instid1(VALU_DEP_3)
	v_mul_lo_u32 v7, v13, s70
	v_cmp_le_u32_e32 vcc_lo, s77, v2
	s_delay_alu instid0(VALU_DEP_4) | instskip(SKIP_1) | instid1(VALU_DEP_1)
	v_cndmask_b32_e32 v4, v5, v4, vcc_lo
	v_subrev_nc_u32_e32 v11, s77, v2
	v_cndmask_b32_e32 v2, v2, v11, vcc_lo
	v_mul_lo_u32 v9, v15, s76
	s_delay_alu instid0(VALU_DEP_4) | instskip(NEXT) | instid1(VALU_DEP_3)
	v_dual_sub_nc_u32 v5, v8, v7 :: v_dual_add_nc_u32 v8, 1, v4
	v_cmp_le_u32_e32 vcc_lo, s77, v2
	s_delay_alu instid0(VALU_DEP_3) | instskip(NEXT) | instid1(VALU_DEP_3)
	v_sub_nc_u32_e32 v7, v10, v9
	v_subrev_nc_u32_e32 v10, s70, v5
	s_delay_alu instid0(VALU_DEP_2) | instskip(SKIP_2) | instid1(VALU_DEP_4)
	v_subrev_nc_u32_e32 v11, s76, v7
	v_cndmask_b32_e32 v4, v4, v8, vcc_lo
	v_cmp_le_u32_e32 vcc_lo, s70, v5
	v_dual_cndmask_b32 v2, v5, v10, vcc_lo :: v_dual_bitop2_b32 v9, s79, v16 bitop3:0x14
	v_cmp_le_u32_e32 vcc_lo, s76, v7
	s_delay_alu instid0(VALU_DEP_2) | instskip(NEXT) | instid1(VALU_DEP_3)
	v_cmp_le_u32_e64 s0, s70, v2
	v_dual_cndmask_b32 v7, v7, v11, vcc_lo :: v_dual_bitop2_b32 v4, v4, v9 bitop3:0x14
	s_and_not1_b32 vcc_lo, exec_lo, s6
	s_delay_alu instid0(VALU_DEP_1) | instskip(NEXT) | instid1(VALU_DEP_2)
	v_cmp_le_u32_e64 s1, s76, v7
	v_sub_nc_u32_e32 v4, v4, v9
	s_cbranch_vccnz .LBB80_5
; %bb.4:                                ;   in Loop: Header=BB80_3 Depth=1
	s_delay_alu instid0(VALU_DEP_1)
	v_ashrrev_i32_e32 v5, 31, v4
	s_mov_b32 s47, 0
.LBB80_5:                               ;   in Loop: Header=BB80_3 Depth=1
	v_subrev_nc_u32_e32 v8, s70, v2
	v_subrev_nc_u32_e32 v9, s76, v7
	v_mul_lo_u32 v10, v1, s42
	v_dual_ashrrev_i32 v1, 31, v1 :: v_dual_ashrrev_i32 v11, 31, v6
	s_delay_alu instid0(VALU_DEP_3) | instskip(SKIP_1) | instid1(VALU_DEP_1)
	v_dual_cndmask_b32 v2, v2, v8, s0 :: v_dual_cndmask_b32 v6, v7, v9, s1
	s_and_not1_b32 vcc_lo, exec_lo, s47
	v_xor_b32_e32 v2, v2, v1
	s_delay_alu instid0(VALU_DEP_2) | instskip(SKIP_1) | instid1(VALU_DEP_3)
	v_xor_b32_e32 v9, v6, v11
	v_mov_b64_e32 v[6:7], 0
	v_dual_sub_nc_u32 v8, v0, v10 :: v_dual_sub_nc_u32 v10, v2, v1
	s_delay_alu instid0(VALU_DEP_3)
	v_sub_nc_u32_e32 v12, v9, v11
	s_cbranch_vccnz .LBB80_19
; %bb.6:                                ;   in Loop: Header=BB80_3 Depth=1
	s_delay_alu instid0(VALU_DEP_1) | instskip(NEXT) | instid1(VALU_DEP_3)
	v_mul_lo_u32 v1, v12, s16
	v_mul_lo_u32 v9, v10, s17
	v_mad_u32 v11, v8, s18, s29
	v_mov_b64_e32 v[6:7], 0
	v_ashrrev_i32_e32 v5, 31, v4
	s_mov_b32 s1, 0
	s_mov_b64 s[58:59], s[50:51]
	s_branch .LBB80_8
.LBB80_7:                               ;   in Loop: Header=BB80_8 Depth=2
	s_add_co_i32 s1, s1, 1
	s_add_nc_u64 s[58:59], s[58:59], s[52:53]
	s_cmp_eq_u32 s1, s7
	s_cbranch_scc1 .LBB80_19
.LBB80_8:                               ;   Parent Loop BB80_3 Depth=1
                                        ; =>  This Loop Header: Depth=2
                                        ;       Child Loop BB80_11 Depth 3
                                        ;         Child Loop BB80_14 Depth 4
                                        ;           Child Loop BB80_17 Depth 5
	s_and_not1_b32 vcc_lo, exec_lo, s66
	s_cbranch_vccnz .LBB80_7
; %bb.9:                                ;   in Loop: Header=BB80_8 Depth=2
	v_mad_nc_u64_u32 v[14:15], s1, s71, v[4:5]
	s_mov_b32 s47, 0
	s_mov_b64 s[60:61], s[58:59]
	s_delay_alu instid0(VALU_DEP_1) | instskip(NEXT) | instid1(VALU_DEP_1)
	v_mad_u32 v15, s1, s72, v15
	v_mul_u64_e32 v[14:15], s[34:35], v[14:15]
	s_branch .LBB80_11
.LBB80_10:                              ;   in Loop: Header=BB80_11 Depth=3
	s_add_co_i32 s47, s47, 1
	s_add_nc_u64 s[60:61], s[60:61], s[54:55]
	s_cmp_eq_u32 s47, s44
	s_cbranch_scc1 .LBB80_7
.LBB80_11:                              ;   Parent Loop BB80_3 Depth=1
                                        ;     Parent Loop BB80_8 Depth=2
                                        ; =>    This Loop Header: Depth=3
                                        ;         Child Loop BB80_14 Depth 4
                                        ;           Child Loop BB80_17 Depth 5
	s_and_not1_b32 vcc_lo, exec_lo, s67
	s_cbranch_vccnz .LBB80_10
; %bb.12:                               ;   in Loop: Header=BB80_11 Depth=3
	s_mul_i32 s0, s47, s13
	s_mov_b32 s80, 0
	s_sub_co_i32 s0, s0, s19
	s_mov_b64 s[62:63], s[60:61]
	v_add_nc_u32_e32 v2, s0, v1
	s_delay_alu instid0(VALU_DEP_1)
	v_add_nc_u64_e32 v[16:17], v[14:15], v[2:3]
	v_cmp_gt_i32_e32 vcc_lo, 0, v2
	v_cmp_le_i32_e64 s0, s34, v2
	s_or_b32 s81, vcc_lo, s0
	v_mul_u64_e32 v[16:17], s[36:37], v[16:17]
	s_branch .LBB80_14
.LBB80_13:                              ;   in Loop: Header=BB80_14 Depth=4
	s_add_co_i32 s80, s80, 1
	s_add_nc_u64 s[62:63], s[62:63], s[56:57]
	s_cmp_eq_u32 s80, s46
	s_cbranch_scc1 .LBB80_10
.LBB80_14:                              ;   Parent Loop BB80_3 Depth=1
                                        ;     Parent Loop BB80_8 Depth=2
                                        ;       Parent Loop BB80_11 Depth=3
                                        ; =>      This Loop Header: Depth=4
                                        ;           Child Loop BB80_17 Depth 5
	s_and_not1_b32 vcc_lo, exec_lo, s68
	s_cbranch_vccnz .LBB80_13
; %bb.15:                               ;   in Loop: Header=BB80_14 Depth=4
	s_mul_i32 s0, s80, s14
	s_mov_b64 s[64:65], s[62:63]
	s_sub_co_i32 s0, s0, s28
	s_mov_b32 s83, s12
	v_add_nc_u32_e32 v2, s0, v9
	s_delay_alu instid0(VALU_DEP_1)
	v_add_nc_u64_e32 v[18:19], v[16:17], v[2:3]
	v_cmp_gt_i32_e32 vcc_lo, 0, v2
	v_cmp_le_i32_e64 s0, s36, v2
	v_mov_b32_e32 v2, v11
	s_or_b32 s0, vcc_lo, s0
	v_mul_u64_e32 v[18:19], s[38:39], v[18:19]
	s_or_b32 s82, s81, s0
	s_delay_alu instid0(VALU_DEP_1)
	v_lshl_add_u64 v[18:19], v[18:19], 2, s[20:21]
	s_branch .LBB80_17
.LBB80_16:                              ;   in Loop: Header=BB80_17 Depth=5
	s_or_b32 exec_lo, exec_lo, s0
	v_add_nc_u32_e32 v2, s15, v2
	s_add_co_i32 s83, s83, -1
	s_add_nc_u64 s[64:65], s[64:65], 4
	s_cmp_eq_u32 s83, 0
	s_cbranch_scc1 .LBB80_13
.LBB80_17:                              ;   Parent Loop BB80_3 Depth=1
                                        ;     Parent Loop BB80_8 Depth=2
                                        ;       Parent Loop BB80_11 Depth=3
                                        ;         Parent Loop BB80_14 Depth=4
                                        ; =>        This Inner Loop Header: Depth=5
	v_cmp_gt_i32_e32 vcc_lo, 0, v2
	v_cmp_le_i32_e64 s0, s38, v2
	s_or_b32 s0, vcc_lo, s0
	s_delay_alu instid0(SALU_CYCLE_1) | instskip(NEXT) | instid1(SALU_CYCLE_1)
	s_nor_b32 s84, s82, s0
	s_and_saveexec_b32 s0, s84
	s_cbranch_execz .LBB80_16
; %bb.18:                               ;   in Loop: Header=BB80_17 Depth=5
	v_lshl_add_u64 v[20:21], v[2:3], 2, v[18:19]
	s_load_b32 s84, s[64:65], 0x0
	global_load_b32 v13, v[20:21], off
	s_wait_kmcnt 0x0
	v_cvt_f64_f32_e32 v[22:23], s84
	s_wait_loadcnt 0x0
	s_wait_xcnt 0x0
	v_cvt_f64_f32_e32 v[20:21], v13
	s_delay_alu instid0(VALU_DEP_1)
	v_fmac_f64_e32 v[6:7], v[20:21], v[22:23]
	s_branch .LBB80_16
.LBB80_19:                              ;   in Loop: Header=BB80_3 Depth=1
	s_delay_alu instid0(VALU_DEP_1) | instskip(NEXT) | instid1(VALU_DEP_3)
	v_dual_ashrrev_i32 v13, 31, v12 :: v_dual_ashrrev_i32 v11, 31, v10
	v_ashrrev_i32_e32 v9, 31, v8
	s_and_not1_b32 vcc_lo, exec_lo, s73
	s_delay_alu instid0(VALU_DEP_2) | instskip(NEXT) | instid1(VALU_DEP_1)
	v_mad_nc_u64_u32 v[12:13], v4, s4, v[12:13]
	v_mad_u32 v1, v5, s4, v13
	s_delay_alu instid0(VALU_DEP_1) | instskip(NEXT) | instid1(VALU_DEP_3)
	v_mad_u32 v1, v4, s5, v1
	v_mad_nc_u64_u32 v[4:5], v12, s40, v[10:11]
	s_delay_alu instid0(VALU_DEP_1) | instskip(NEXT) | instid1(VALU_DEP_1)
	v_mad_u32 v1, v1, s40, v5
	v_mad_u32 v5, v12, s41, v1
	s_delay_alu instid0(VALU_DEP_1) | instskip(NEXT) | instid1(VALU_DEP_1)
	v_mul_u64_e32 v[4:5], s[42:43], v[4:5]
	v_lshl_add_u64 v[4:5], v[4:5], 2, s[22:23]
	s_delay_alu instid0(VALU_DEP_1)
	v_lshl_add_u64 v[4:5], v[8:9], 2, v[4:5]
	s_cbranch_vccnz .LBB80_2
; %bb.20:                               ;   in Loop: Header=BB80_3 Depth=1
	global_load_b32 v1, v[4:5], off
	s_wait_loadcnt 0x0
	v_cvt_f64_f32_e32 v[8:9], v1
	s_delay_alu instid0(VALU_DEP_1) | instskip(NEXT) | instid1(VALU_DEP_1)
	v_mul_f64_e32 v[8:9], s[26:27], v[8:9]
	v_fmac_f64_e32 v[8:9], s[24:25], v[6:7]
	s_delay_alu instid0(VALU_DEP_1)
	v_mov_b64_e32 v[6:7], v[8:9]
	s_branch .LBB80_2
.LBB80_21:
	s_endpgm
	.section	.rodata,"a",@progbits
	.p2align	6, 0x0
	.amdhsa_kernel naive_conv_ab_packed_wrw_ncdhw_float_double_float
		.amdhsa_group_segment_fixed_size 0
		.amdhsa_private_segment_fixed_size 0
		.amdhsa_kernarg_size 528
		.amdhsa_user_sgpr_count 2
		.amdhsa_user_sgpr_dispatch_ptr 0
		.amdhsa_user_sgpr_queue_ptr 0
		.amdhsa_user_sgpr_kernarg_segment_ptr 1
		.amdhsa_user_sgpr_dispatch_id 0
		.amdhsa_user_sgpr_kernarg_preload_length 0
		.amdhsa_user_sgpr_kernarg_preload_offset 0
		.amdhsa_user_sgpr_private_segment_size 0
		.amdhsa_wavefront_size32 1
		.amdhsa_uses_dynamic_stack 0
		.amdhsa_enable_private_segment 0
		.amdhsa_system_sgpr_workgroup_id_x 1
		.amdhsa_system_sgpr_workgroup_id_y 0
		.amdhsa_system_sgpr_workgroup_id_z 0
		.amdhsa_system_sgpr_workgroup_info 0
		.amdhsa_system_vgpr_workitem_id 0
		.amdhsa_next_free_vgpr 24
		.amdhsa_next_free_sgpr 85
		.amdhsa_named_barrier_count 0
		.amdhsa_reserve_vcc 1
		.amdhsa_float_round_mode_32 0
		.amdhsa_float_round_mode_16_64 0
		.amdhsa_float_denorm_mode_32 3
		.amdhsa_float_denorm_mode_16_64 3
		.amdhsa_fp16_overflow 0
		.amdhsa_memory_ordered 1
		.amdhsa_forward_progress 1
		.amdhsa_inst_pref_size 16
		.amdhsa_round_robin_scheduling 0
		.amdhsa_exception_fp_ieee_invalid_op 0
		.amdhsa_exception_fp_denorm_src 0
		.amdhsa_exception_fp_ieee_div_zero 0
		.amdhsa_exception_fp_ieee_overflow 0
		.amdhsa_exception_fp_ieee_underflow 0
		.amdhsa_exception_fp_ieee_inexact 0
		.amdhsa_exception_int_div_zero 0
	.end_amdhsa_kernel
	.text
.Lfunc_end80:
	.size	naive_conv_ab_packed_wrw_ncdhw_float_double_float, .Lfunc_end80-naive_conv_ab_packed_wrw_ncdhw_float_double_float
                                        ; -- End function
	.set naive_conv_ab_packed_wrw_ncdhw_float_double_float.num_vgpr, 24
	.set naive_conv_ab_packed_wrw_ncdhw_float_double_float.num_agpr, 0
	.set naive_conv_ab_packed_wrw_ncdhw_float_double_float.numbered_sgpr, 85
	.set naive_conv_ab_packed_wrw_ncdhw_float_double_float.num_named_barrier, 0
	.set naive_conv_ab_packed_wrw_ncdhw_float_double_float.private_seg_size, 0
	.set naive_conv_ab_packed_wrw_ncdhw_float_double_float.uses_vcc, 1
	.set naive_conv_ab_packed_wrw_ncdhw_float_double_float.uses_flat_scratch, 0
	.set naive_conv_ab_packed_wrw_ncdhw_float_double_float.has_dyn_sized_stack, 0
	.set naive_conv_ab_packed_wrw_ncdhw_float_double_float.has_recursion, 0
	.set naive_conv_ab_packed_wrw_ncdhw_float_double_float.has_indirect_call, 0
	.section	.AMDGPU.csdata,"",@progbits
; Kernel info:
; codeLenInByte = 1956
; TotalNumSgprs: 87
; NumVgprs: 24
; ScratchSize: 0
; MemoryBound: 0
; FloatMode: 240
; IeeeMode: 1
; LDSByteSize: 0 bytes/workgroup (compile time only)
; SGPRBlocks: 0
; VGPRBlocks: 1
; NumSGPRsForWavesPerEU: 87
; NumVGPRsForWavesPerEU: 24
; NamedBarCnt: 0
; Occupancy: 16
; WaveLimiterHint : 0
; COMPUTE_PGM_RSRC2:SCRATCH_EN: 0
; COMPUTE_PGM_RSRC2:USER_SGPR: 2
; COMPUTE_PGM_RSRC2:TRAP_HANDLER: 0
; COMPUTE_PGM_RSRC2:TGID_X_EN: 1
; COMPUTE_PGM_RSRC2:TGID_Y_EN: 0
; COMPUTE_PGM_RSRC2:TGID_Z_EN: 0
; COMPUTE_PGM_RSRC2:TIDIG_COMP_CNT: 0
	.text
	.protected	naive_conv_ab_nonpacked_wrw_ncdhw_float_double_float ; -- Begin function naive_conv_ab_nonpacked_wrw_ncdhw_float_double_float
	.globl	naive_conv_ab_nonpacked_wrw_ncdhw_float_double_float
	.p2align	8
	.type	naive_conv_ab_nonpacked_wrw_ncdhw_float_double_float,@function
naive_conv_ab_nonpacked_wrw_ncdhw_float_double_float: ; @naive_conv_ab_nonpacked_wrw_ncdhw_float_double_float
; %bb.0:
	s_clause 0x2
	s_load_b512 s[4:19], s[0:1], 0xb8
	s_load_b32 s33, s[0:1], 0x108
	s_load_b128 s[28:31], s[0:1], 0xf8
	s_bfe_u32 s2, ttmp6, 0x4000c
	s_and_b32 s3, ttmp6, 15
	s_add_co_i32 s2, s2, 1
	s_getreg_b32 s20, hwreg(HW_REG_IB_STS2, 6, 4)
	s_mul_i32 s2, ttmp9, s2
	s_delay_alu instid0(SALU_CYCLE_1)
	s_add_co_i32 s3, s3, s2
	s_cmp_eq_u32 s20, 0
	s_cselect_b32 s34, ttmp9, s3
	s_mov_b32 s3, 0
	s_wait_kmcnt 0x0
	s_abs_i32 s20, s8
	s_delay_alu instid0(SALU_CYCLE_1) | instskip(SKIP_1) | instid1(SALU_CYCLE_1)
	s_cvt_f32_u32 s2, s20
	s_mul_i32 s73, s33, s31
	s_mul_i32 s72, s73, s30
	s_delay_alu instid0(SALU_CYCLE_1) | instskip(SKIP_3) | instid1(TRANS32_DEP_1)
	v_rcp_iflag_f32_e32 v1, s2
	s_mul_i32 s76, s72, s9
	s_mov_b32 s9, exec_lo
	v_nop
	v_readfirstlane_b32 s2, v1
	v_cmpx_gt_i32_e64 s76, v0
	s_cbranch_execz .LBB81_21
; %bb.1:
	s_mul_f32 s2, s2, 0x4f7ffffe
	s_sub_co_i32 s22, 0, s20
	s_mov_b32 s23, s3
	s_ashr_i32 s9, s34, 31
	s_cvt_u32_f32 s21, s2
	s_abs_i32 s2, s34
	s_ashr_i32 s24, s8, 31
	s_load_b512 s[36:51], s[0:1], 0x28
	s_mul_i32 s22, s22, s21
	s_load_b512 s[52:67], s[0:1], 0x68
	s_mul_hi_u32 s22, s21, s22
	s_load_b128 s[68:71], s[0:1], 0xa8
	s_add_co_i32 s22, s21, s22
	s_xor_b32 s9, s9, s24
	s_mul_u64 s[22:23], s[2:3], s[22:23]
	v_mov_b32_e32 v3, 0
	s_mul_i32 s21, s23, s20
	s_mov_b32 s91, 0
	s_sub_co_i32 s2, s2, s21
	s_add_co_i32 s21, s23, 1
	s_sub_co_i32 s22, s2, s20
	s_cmp_ge_u32 s2, s20
	s_cselect_b32 s21, s21, s23
	s_cselect_b32 s2, s22, s2
	s_add_co_i32 s22, s21, 1
	s_cmp_ge_u32 s2, s20
	s_cselect_b32 s2, s22, s21
	s_load_b256 s[20:27], s[0:1], 0x0
	s_xor_b32 s2, s2, s9
	s_delay_alu instid0(SALU_CYCLE_1)
	s_sub_co_i32 s74, s2, s9
	s_load_b32 s2, s[0:1], 0x11c
	s_mul_i32 s8, s74, s8
	s_ashr_i32 s75, s74, 31
	s_sub_co_i32 s8, s34, s8
	s_wait_kmcnt 0x0
	s_mul_u64 s[34:35], s[44:45], s[74:75]
	s_ashr_i32 s9, s8, 31
	s_mul_u64 s[44:45], s[58:59], s[74:75]
	s_mul_u64 s[58:59], s[68:69], s[74:75]
	;; [unrolled: 1-line block ×4, first 2 shown]
	s_lshl_b64 s[34:35], s[34:35], 2
	s_lshl_b64 s[44:45], s[44:45], 2
	;; [unrolled: 1-line block ×5, first 2 shown]
	s_cmp_lt_i32 s7, 1
	s_load_b64 s[0:1], s[0:1], 0x20
	s_cselect_b32 s77, -1, 0
	s_cmp_gt_i32 s10, 0
	v_cmp_neq_f64_e64 s68, s[24:25], 1.0
	s_cselect_b32 s78, -1, 0
	s_cmp_gt_i32 s11, 0
	v_cmp_neq_f64_e64 s69, s[26:27], 0
	s_cselect_b32 s79, -1, 0
	s_cmp_gt_i32 s12, 0
	s_cselect_b32 s80, -1, 0
	s_abs_i32 s81, s33
	s_abs_i32 s82, s31
	s_cvt_f32_u32 s8, s81
	s_cvt_f32_u32 s31, s82
	s_abs_i32 s85, s73
	s_and_b32 s83, s2, 0xffff
	v_rcp_iflag_f32_e32 v1, s8
	v_rcp_iflag_f32_e32 v2, s31
	s_cvt_f32_u32 s2, s85
	s_wait_kmcnt 0x0
	s_add_nc_u64 s[0:1], s[0:1], s[58:59]
	s_add_nc_u64 s[8:9], s[20:21], s[34:35]
	;; [unrolled: 1-line block ×4, first 2 shown]
	v_nop
	v_readfirstlane_b32 s31, v1
	v_rcp_iflag_f32_e32 v1, s2
	v_readfirstlane_b32 s0, v2
	s_abs_i32 s87, s30
	s_abs_i32 s88, s72
	s_mul_f32 s1, s31, 0x4f7ffffe
	s_cvt_f32_u32 s34, s87
	s_mul_f32 s0, s0, 0x4f7ffffe
	s_sub_co_i32 s31, 0, s81
	s_cvt_u32_f32 s1, s1
	v_readfirstlane_b32 s35, v1
	v_rcp_iflag_f32_e32 v1, s34
	s_cvt_f32_u32 s34, s88
	s_mul_i32 s31, s31, s1
	s_cvt_u32_f32 s0, s0
	s_mul_hi_u32 s2, s1, s31
	s_sub_co_i32 s31, 0, s82
	s_add_co_i32 s30, s1, s2
	s_mul_f32 s2, s35, 0x4f7ffffe
	v_rcp_iflag_f32_e32 v2, s34
	s_mul_i32 s1, s31, s0
	v_readfirstlane_b32 s44, v1
	s_mul_hi_u32 s1, s0, s1
	s_cvt_u32_f32 s2, s2
	s_add_co_i32 s34, s0, s1
	s_sub_co_i32 s0, 0, s85
	v_readfirstlane_b32 s45, v2
	s_mul_i32 s0, s0, s2
	s_mul_f32 s1, s44, 0x4f7ffffe
	s_mul_hi_u32 s0, s2, s0
	s_add_nc_u64 s[20:21], s[20:21], s[56:57]
	s_add_co_i32 s44, s2, s0
	s_cvt_u32_f32 s0, s1
	s_mul_f32 s1, s45, 0x4f7ffffe
	s_sub_co_i32 s2, 0, s87
	s_sub_co_i32 s57, 0, s88
	s_mul_i32 s2, s2, s0
	s_cvt_u32_f32 s1, s1
	s_mul_hi_u32 s2, s0, s2
	s_ashr_i32 s84, s33, 31
	s_add_co_i32 s56, s0, s2
	s_mul_i32 s0, s57, s1
	s_or_b32 s86, s68, s69
	s_mul_hi_u32 s0, s1, s0
	s_mov_b32 s31, s3
	s_mov_b32 s35, s3
	s_ashr_i32 s89, s73, 31
	s_mov_b32 s45, s3
	s_mov_b32 s57, s3
	s_ashr_i32 s90, s72, 31
	s_add_co_i32 s58, s1, s0
	s_mov_b32 s59, s3
	s_lshl_b64 s[66:67], s[70:71], 2
	s_lshl_b64 s[64:65], s[64:65], 2
	;; [unrolled: 1-line block ×4, first 2 shown]
	s_sub_co_i32 s29, 0, s29
	s_branch .LBB81_3
.LBB81_2:                               ;   in Loop: Header=BB81_3 Depth=1
	s_delay_alu instid0(VALU_DEP_1) | instskip(SKIP_1) | instid1(VALU_DEP_1)
	v_cvt_f32_f64_e32 v1, v[6:7]
	v_add_nc_u32_e32 v0, s83, v0
	v_cmp_le_i32_e32 vcc_lo, s76, v0
	s_or_b32 s91, vcc_lo, s91
	global_store_b32 v[4:5], v1, off
	s_wait_xcnt 0x0
	s_and_not1_b32 exec_lo, exec_lo, s91
	s_cbranch_execz .LBB81_21
.LBB81_3:                               ; =>This Loop Header: Depth=1
                                        ;     Child Loop BB81_8 Depth 2
                                        ;       Child Loop BB81_11 Depth 3
                                        ;         Child Loop BB81_14 Depth 4
                                        ;           Child Loop BB81_17 Depth 5
	v_sub_nc_u32_e32 v1, 0, v0
	s_mov_b32 s2, -1
	s_delay_alu instid0(VALU_DEP_1) | instskip(NEXT) | instid1(VALU_DEP_1)
	v_dual_ashrrev_i32 v16, 31, v0 :: v_dual_max_i32 v2, v0, v1
	v_mul_u64_e32 v[4:5], s[30:31], v[2:3]
	v_mul_u64_e32 v[6:7], s[44:45], v[2:3]
	s_delay_alu instid0(VALU_DEP_2) | instskip(NEXT) | instid1(VALU_DEP_2)
	v_mul_lo_u32 v1, v5, s81
	v_mul_lo_u32 v4, v7, s85
	v_add_nc_u32_e32 v6, 1, v5
	s_delay_alu instid0(VALU_DEP_2) | instskip(NEXT) | instid1(VALU_DEP_1)
	v_dual_sub_nc_u32 v1, v2, v1 :: v_dual_sub_nc_u32 v4, v2, v4
	v_cmp_le_u32_e32 vcc_lo, s81, v1
	v_add_nc_u32_e32 v8, 1, v7
	s_delay_alu instid0(VALU_DEP_3) | instskip(SKIP_3) | instid1(VALU_DEP_4)
	v_cmp_le_u32_e64 s0, s85, v4
	v_subrev_nc_u32_e32 v9, s85, v4
	v_cndmask_b32_e32 v5, v5, v6, vcc_lo
	v_subrev_nc_u32_e32 v6, s81, v1
	v_cndmask_b32_e64 v7, v7, v8, s0
	s_delay_alu instid0(VALU_DEP_2) | instskip(NEXT) | instid1(VALU_DEP_4)
	v_dual_cndmask_b32 v1, v1, v6, vcc_lo :: v_dual_bitop2_b32 v8, s84, v16 bitop3:0x14
	v_add_nc_u32_e32 v6, 1, v5
	s_delay_alu instid0(VALU_DEP_3) | instskip(NEXT) | instid1(VALU_DEP_3)
	v_dual_cndmask_b32 v4, v4, v9, s0 :: v_dual_add_nc_u32 v9, 1, v7
	v_cmp_le_u32_e32 vcc_lo, s81, v1
	s_delay_alu instid0(VALU_DEP_3) | instskip(NEXT) | instid1(VALU_DEP_3)
	v_dual_cndmask_b32 v1, v5, v6, vcc_lo :: v_dual_bitop2_b32 v10, s89, v16 bitop3:0x14
	v_cmp_le_u32_e32 vcc_lo, s85, v4
	s_delay_alu instid0(VALU_DEP_2) | instskip(NEXT) | instid1(VALU_DEP_1)
	v_dual_cndmask_b32 v4, v7, v9, vcc_lo :: v_dual_bitop2_b32 v1, v1, v8 bitop3:0x14
	v_dual_mov_b32 v9, v3 :: v_dual_sub_nc_u32 v1, v1, v8
	s_delay_alu instid0(VALU_DEP_2) | instskip(NEXT) | instid1(VALU_DEP_1)
	v_xor_b32_e32 v4, v4, v10
	v_sub_nc_u32_e32 v6, v4, v10
	v_mul_u64_e32 v[4:5], s[58:59], v[2:3]
	s_delay_alu instid0(VALU_DEP_4) | instskip(NEXT) | instid1(VALU_DEP_1)
	v_dual_mov_b32 v11, v3 :: v_dual_sub_nc_u32 v4, 0, v1
	v_dual_sub_nc_u32 v7, 0, v6 :: v_dual_max_i32 v8, v1, v4
	s_delay_alu instid0(VALU_DEP_1) | instskip(NEXT) | instid1(VALU_DEP_2)
	v_max_i32_e32 v10, v6, v7
	v_mul_u64_e32 v[12:13], s[34:35], v[8:9]
	v_mul_lo_u32 v4, v5, s88
	s_delay_alu instid0(VALU_DEP_1) | instskip(NEXT) | instid1(VALU_DEP_4)
	v_dual_sub_nc_u32 v2, v2, v4 :: v_dual_add_nc_u32 v4, 1, v5
	v_mul_u64_e32 v[14:15], s[56:57], v[10:11]
	s_delay_alu instid0(VALU_DEP_4) | instskip(NEXT) | instid1(VALU_DEP_3)
	v_mul_lo_u32 v7, v13, s82
	v_cmp_le_u32_e32 vcc_lo, s88, v2
	s_delay_alu instid0(VALU_DEP_4) | instskip(SKIP_1) | instid1(VALU_DEP_1)
	v_cndmask_b32_e32 v4, v5, v4, vcc_lo
	v_subrev_nc_u32_e32 v11, s88, v2
	v_cndmask_b32_e32 v2, v2, v11, vcc_lo
	v_mul_lo_u32 v9, v15, s87
	s_delay_alu instid0(VALU_DEP_4) | instskip(NEXT) | instid1(VALU_DEP_3)
	v_dual_sub_nc_u32 v5, v8, v7 :: v_dual_add_nc_u32 v8, 1, v4
	v_cmp_le_u32_e32 vcc_lo, s88, v2
	s_delay_alu instid0(VALU_DEP_3) | instskip(NEXT) | instid1(VALU_DEP_3)
	v_sub_nc_u32_e32 v7, v10, v9
	v_subrev_nc_u32_e32 v10, s82, v5
	s_delay_alu instid0(VALU_DEP_2) | instskip(SKIP_2) | instid1(VALU_DEP_4)
	v_subrev_nc_u32_e32 v11, s87, v7
	v_cndmask_b32_e32 v4, v4, v8, vcc_lo
	v_cmp_le_u32_e32 vcc_lo, s82, v5
	v_dual_cndmask_b32 v2, v5, v10, vcc_lo :: v_dual_bitop2_b32 v9, s90, v16 bitop3:0x14
	v_cmp_le_u32_e32 vcc_lo, s87, v7
	s_delay_alu instid0(VALU_DEP_2) | instskip(NEXT) | instid1(VALU_DEP_3)
	v_cmp_le_u32_e64 s0, s82, v2
	v_dual_cndmask_b32 v7, v7, v11, vcc_lo :: v_dual_bitop2_b32 v4, v4, v9 bitop3:0x14
	s_and_not1_b32 vcc_lo, exec_lo, s77
	s_delay_alu instid0(VALU_DEP_1) | instskip(NEXT) | instid1(VALU_DEP_2)
	v_cmp_le_u32_e64 s1, s87, v7
	v_sub_nc_u32_e32 v4, v4, v9
	s_cbranch_vccnz .LBB81_5
; %bb.4:                                ;   in Loop: Header=BB81_3 Depth=1
	s_delay_alu instid0(VALU_DEP_1)
	v_ashrrev_i32_e32 v5, 31, v4
	s_mov_b32 s2, 0
.LBB81_5:                               ;   in Loop: Header=BB81_3 Depth=1
	v_subrev_nc_u32_e32 v8, s82, v2
	v_subrev_nc_u32_e32 v9, s87, v7
	v_mul_lo_u32 v10, v1, s33
	v_dual_ashrrev_i32 v1, 31, v1 :: v_dual_ashrrev_i32 v11, 31, v6
	s_delay_alu instid0(VALU_DEP_3) | instskip(SKIP_1) | instid1(VALU_DEP_1)
	v_dual_cndmask_b32 v2, v2, v8, s0 :: v_dual_cndmask_b32 v6, v7, v9, s1
	s_and_not1_b32 vcc_lo, exec_lo, s2
	v_xor_b32_e32 v2, v2, v1
	s_delay_alu instid0(VALU_DEP_2) | instskip(SKIP_1) | instid1(VALU_DEP_3)
	v_xor_b32_e32 v9, v6, v11
	v_mov_b64_e32 v[6:7], 0
	v_dual_sub_nc_u32 v8, v0, v10 :: v_dual_sub_nc_u32 v10, v2, v1
	s_delay_alu instid0(VALU_DEP_3)
	v_sub_nc_u32_e32 v12, v9, v11
	s_cbranch_vccnz .LBB81_19
; %bb.6:                                ;   in Loop: Header=BB81_3 Depth=1
	v_ashrrev_i32_e32 v5, 31, v4
	s_delay_alu instid0(VALU_DEP_2)
	v_mul_lo_u32 v1, v12, s16
	v_mul_lo_u32 v9, v10, s17
	v_mad_u32 v11, v8, s18, s29
	v_mov_b64_e32 v[6:7], 0
	v_mul_u64_e32 v[14:15], s[42:43], v[4:5]
	s_mov_b32 s2, 0
	s_mov_b64 s[68:69], s[22:23]
	s_delay_alu instid0(VALU_DEP_1)
	v_lshl_add_u64 v[14:15], v[14:15], 2, s[8:9]
	s_branch .LBB81_8
.LBB81_7:                               ;   in Loop: Header=BB81_8 Depth=2
	s_add_co_i32 s2, s2, 1
	s_add_nc_u64 s[68:69], s[68:69], s[66:67]
	s_cmp_eq_u32 s2, s7
	s_cbranch_scc1 .LBB81_19
.LBB81_8:                               ;   Parent Loop BB81_3 Depth=1
                                        ; =>  This Loop Header: Depth=2
                                        ;       Child Loop BB81_11 Depth 3
                                        ;         Child Loop BB81_14 Depth 4
                                        ;           Child Loop BB81_17 Depth 5
	s_and_not1_b32 vcc_lo, exec_lo, s78
	s_cbranch_vccnz .LBB81_7
; %bb.9:                                ;   in Loop: Header=BB81_8 Depth=2
	s_mul_u64 s[0:1], s[46:47], s[2:3]
	s_mov_b64 s[70:71], s[68:69]
	v_lshl_add_u64 v[16:17], s[0:1], 2, v[14:15]
	s_mov_b32 s1, 0
	s_branch .LBB81_11
.LBB81_10:                              ;   in Loop: Header=BB81_11 Depth=3
	s_add_co_i32 s1, s1, 1
	s_add_nc_u64 s[70:71], s[70:71], s[64:65]
	s_cmp_eq_u32 s1, s10
	s_cbranch_scc1 .LBB81_7
.LBB81_11:                              ;   Parent Loop BB81_3 Depth=1
                                        ;     Parent Loop BB81_8 Depth=2
                                        ; =>    This Loop Header: Depth=3
                                        ;         Child Loop BB81_14 Depth 4
                                        ;           Child Loop BB81_17 Depth 5
	s_and_not1_b32 vcc_lo, exec_lo, s79
	s_cbranch_vccnz .LBB81_10
; %bb.12:                               ;   in Loop: Header=BB81_11 Depth=3
	s_mul_i32 s0, s1, s13
	s_mov_b32 s92, 0
	s_sub_co_i32 s0, s0, s19
	s_mov_b64 s[72:73], s[70:71]
	v_add_nc_u32_e32 v2, s0, v1
	s_delay_alu instid0(VALU_DEP_1)
	v_mul_u64_e32 v[18:19], s[40:41], v[2:3]
	v_cmp_gt_i32_e32 vcc_lo, 0, v2
	v_cmp_le_i32_e64 s0, s4, v2
	s_or_b32 s93, vcc_lo, s0
	v_lshl_add_u64 v[18:19], v[18:19], 2, v[16:17]
	s_branch .LBB81_14
.LBB81_13:                              ;   in Loop: Header=BB81_14 Depth=4
	s_add_co_i32 s92, s92, 1
	s_add_nc_u64 s[72:73], s[72:73], s[62:63]
	s_cmp_eq_u32 s92, s11
	s_cbranch_scc1 .LBB81_10
.LBB81_14:                              ;   Parent Loop BB81_3 Depth=1
                                        ;     Parent Loop BB81_8 Depth=2
                                        ;       Parent Loop BB81_11 Depth=3
                                        ; =>      This Loop Header: Depth=4
                                        ;           Child Loop BB81_17 Depth 5
	s_and_not1_b32 vcc_lo, exec_lo, s80
	s_cbranch_vccnz .LBB81_13
; %bb.15:                               ;   in Loop: Header=BB81_14 Depth=4
	s_mul_i32 s0, s92, s14
	s_mov_b64 s[74:75], s[72:73]
	s_sub_co_i32 s0, s0, s28
	s_mov_b32 s95, s12
	v_add_nc_u32_e32 v2, s0, v9
	s_delay_alu instid0(VALU_DEP_1) | instskip(SKIP_4) | instid1(SALU_CYCLE_1)
	v_mul_u64_e32 v[20:21], s[38:39], v[2:3]
	v_cmp_gt_i32_e32 vcc_lo, 0, v2
	v_cmp_le_i32_e64 s0, s5, v2
	v_mov_b32_e32 v2, v11
	s_or_b32 s0, vcc_lo, s0
	s_or_b32 s94, s93, s0
	v_lshl_add_u64 v[20:21], v[20:21], 2, v[18:19]
	s_branch .LBB81_17
.LBB81_16:                              ;   in Loop: Header=BB81_17 Depth=5
	s_or_b32 exec_lo, exec_lo, s0
	v_add_nc_u32_e32 v2, s15, v2
	s_add_co_i32 s95, s95, -1
	s_add_nc_u64 s[74:75], s[74:75], s[60:61]
	s_cmp_eq_u32 s95, 0
	s_cbranch_scc1 .LBB81_13
.LBB81_17:                              ;   Parent Loop BB81_3 Depth=1
                                        ;     Parent Loop BB81_8 Depth=2
                                        ;       Parent Loop BB81_11 Depth=3
                                        ;         Parent Loop BB81_14 Depth=4
                                        ; =>        This Inner Loop Header: Depth=5
	v_cmp_gt_i32_e32 vcc_lo, 0, v2
	v_cmp_le_i32_e64 s0, s6, v2
	s_or_b32 s0, vcc_lo, s0
	s_delay_alu instid0(SALU_CYCLE_1) | instskip(NEXT) | instid1(SALU_CYCLE_1)
	s_nor_b32 s96, s94, s0
	s_and_saveexec_b32 s0, s96
	s_cbranch_execz .LBB81_16
; %bb.18:                               ;   in Loop: Header=BB81_17 Depth=5
	v_mul_u64_e32 v[22:23], s[36:37], v[2:3]
	s_load_b32 s96, s[74:75], 0x0
	s_wait_kmcnt 0x0
	v_cvt_f64_f32_e32 v[24:25], s96
	s_delay_alu instid0(VALU_DEP_2) | instskip(SKIP_4) | instid1(VALU_DEP_1)
	v_lshl_add_u64 v[22:23], v[22:23], 2, v[20:21]
	global_load_b32 v13, v[22:23], off
	s_wait_loadcnt 0x0
	s_wait_xcnt 0x0
	v_cvt_f64_f32_e32 v[22:23], v13
	v_fmac_f64_e32 v[6:7], v[22:23], v[24:25]
	s_branch .LBB81_16
.LBB81_19:                              ;   in Loop: Header=BB81_3 Depth=1
	v_mul_u64_e32 v[4:5], s[54:55], v[4:5]
	s_delay_alu instid0(VALU_DEP_2) | instskip(SKIP_2) | instid1(VALU_DEP_2)
	v_dual_ashrrev_i32 v13, 31, v12 :: v_dual_ashrrev_i32 v11, 31, v10
	v_ashrrev_i32_e32 v9, 31, v8
	s_and_not1_b32 vcc_lo, exec_lo, s86
	v_mul_u64_e32 v[12:13], s[52:53], v[12:13]
	s_delay_alu instid0(VALU_DEP_3) | instskip(NEXT) | instid1(VALU_DEP_3)
	v_mul_u64_e32 v[10:11], s[50:51], v[10:11]
	v_mul_u64_e32 v[8:9], s[48:49], v[8:9]
	v_lshl_add_u64 v[4:5], v[4:5], 2, s[20:21]
	s_delay_alu instid0(VALU_DEP_1) | instskip(NEXT) | instid1(VALU_DEP_1)
	v_lshl_add_u64 v[4:5], v[12:13], 2, v[4:5]
	v_lshl_add_u64 v[4:5], v[10:11], 2, v[4:5]
	s_delay_alu instid0(VALU_DEP_1)
	v_lshl_add_u64 v[4:5], v[8:9], 2, v[4:5]
	s_cbranch_vccnz .LBB81_2
; %bb.20:                               ;   in Loop: Header=BB81_3 Depth=1
	global_load_b32 v1, v[4:5], off
	s_wait_loadcnt 0x0
	v_cvt_f64_f32_e32 v[8:9], v1
	s_delay_alu instid0(VALU_DEP_1) | instskip(NEXT) | instid1(VALU_DEP_1)
	v_mul_f64_e32 v[8:9], s[26:27], v[8:9]
	v_fmac_f64_e32 v[8:9], s[24:25], v[6:7]
	s_delay_alu instid0(VALU_DEP_1)
	v_mov_b64_e32 v[6:7], v[8:9]
	s_branch .LBB81_2
.LBB81_21:
	s_endpgm
	.section	.rodata,"a",@progbits
	.p2align	6, 0x0
	.amdhsa_kernel naive_conv_ab_nonpacked_wrw_ncdhw_float_double_float
		.amdhsa_group_segment_fixed_size 0
		.amdhsa_private_segment_fixed_size 0
		.amdhsa_kernarg_size 528
		.amdhsa_user_sgpr_count 2
		.amdhsa_user_sgpr_dispatch_ptr 0
		.amdhsa_user_sgpr_queue_ptr 0
		.amdhsa_user_sgpr_kernarg_segment_ptr 1
		.amdhsa_user_sgpr_dispatch_id 0
		.amdhsa_user_sgpr_kernarg_preload_length 0
		.amdhsa_user_sgpr_kernarg_preload_offset 0
		.amdhsa_user_sgpr_private_segment_size 0
		.amdhsa_wavefront_size32 1
		.amdhsa_uses_dynamic_stack 0
		.amdhsa_enable_private_segment 0
		.amdhsa_system_sgpr_workgroup_id_x 1
		.amdhsa_system_sgpr_workgroup_id_y 0
		.amdhsa_system_sgpr_workgroup_id_z 0
		.amdhsa_system_sgpr_workgroup_info 0
		.amdhsa_system_vgpr_workitem_id 0
		.amdhsa_next_free_vgpr 26
		.amdhsa_next_free_sgpr 97
		.amdhsa_named_barrier_count 0
		.amdhsa_reserve_vcc 1
		.amdhsa_float_round_mode_32 0
		.amdhsa_float_round_mode_16_64 0
		.amdhsa_float_denorm_mode_32 3
		.amdhsa_float_denorm_mode_16_64 3
		.amdhsa_fp16_overflow 0
		.amdhsa_memory_ordered 1
		.amdhsa_forward_progress 1
		.amdhsa_inst_pref_size 15
		.amdhsa_round_robin_scheduling 0
		.amdhsa_exception_fp_ieee_invalid_op 0
		.amdhsa_exception_fp_denorm_src 0
		.amdhsa_exception_fp_ieee_div_zero 0
		.amdhsa_exception_fp_ieee_overflow 0
		.amdhsa_exception_fp_ieee_underflow 0
		.amdhsa_exception_fp_ieee_inexact 0
		.amdhsa_exception_int_div_zero 0
	.end_amdhsa_kernel
	.text
.Lfunc_end81:
	.size	naive_conv_ab_nonpacked_wrw_ncdhw_float_double_float, .Lfunc_end81-naive_conv_ab_nonpacked_wrw_ncdhw_float_double_float
                                        ; -- End function
	.set naive_conv_ab_nonpacked_wrw_ncdhw_float_double_float.num_vgpr, 26
	.set naive_conv_ab_nonpacked_wrw_ncdhw_float_double_float.num_agpr, 0
	.set naive_conv_ab_nonpacked_wrw_ncdhw_float_double_float.numbered_sgpr, 97
	.set naive_conv_ab_nonpacked_wrw_ncdhw_float_double_float.num_named_barrier, 0
	.set naive_conv_ab_nonpacked_wrw_ncdhw_float_double_float.private_seg_size, 0
	.set naive_conv_ab_nonpacked_wrw_ncdhw_float_double_float.uses_vcc, 1
	.set naive_conv_ab_nonpacked_wrw_ncdhw_float_double_float.uses_flat_scratch, 0
	.set naive_conv_ab_nonpacked_wrw_ncdhw_float_double_float.has_dyn_sized_stack, 0
	.set naive_conv_ab_nonpacked_wrw_ncdhw_float_double_float.has_recursion, 0
	.set naive_conv_ab_nonpacked_wrw_ncdhw_float_double_float.has_indirect_call, 0
	.section	.AMDGPU.csdata,"",@progbits
; Kernel info:
; codeLenInByte = 1828
; TotalNumSgprs: 99
; NumVgprs: 26
; ScratchSize: 0
; MemoryBound: 0
; FloatMode: 240
; IeeeMode: 1
; LDSByteSize: 0 bytes/workgroup (compile time only)
; SGPRBlocks: 0
; VGPRBlocks: 1
; NumSGPRsForWavesPerEU: 99
; NumVGPRsForWavesPerEU: 26
; NamedBarCnt: 0
; Occupancy: 16
; WaveLimiterHint : 0
; COMPUTE_PGM_RSRC2:SCRATCH_EN: 0
; COMPUTE_PGM_RSRC2:USER_SGPR: 2
; COMPUTE_PGM_RSRC2:TRAP_HANDLER: 0
; COMPUTE_PGM_RSRC2:TGID_X_EN: 1
; COMPUTE_PGM_RSRC2:TGID_Y_EN: 0
; COMPUTE_PGM_RSRC2:TGID_Z_EN: 0
; COMPUTE_PGM_RSRC2:TIDIG_COMP_CNT: 0
	.text
	.protected	naive_conv_ab_packed_wrw_ncdhw_half_double_half ; -- Begin function naive_conv_ab_packed_wrw_ncdhw_half_double_half
	.globl	naive_conv_ab_packed_wrw_ncdhw_half_double_half
	.p2align	8
	.type	naive_conv_ab_packed_wrw_ncdhw_half_double_half,@function
naive_conv_ab_packed_wrw_ncdhw_half_double_half: ; @naive_conv_ab_packed_wrw_ncdhw_half_double_half
; %bb.0:
	s_clause 0x2
	s_load_b512 s[4:19], s[0:1], 0xb8
	s_load_b64 s[48:49], s[0:1], 0x108
	s_load_b128 s[28:31], s[0:1], 0xf8
	s_bfe_u32 s2, ttmp6, 0x4000c
	s_and_b32 s3, ttmp6, 15
	s_add_co_i32 s2, s2, 1
	s_getreg_b32 s20, hwreg(HW_REG_IB_STS2, 6, 4)
	s_mul_i32 s2, ttmp9, s2
	s_delay_alu instid0(SALU_CYCLE_1)
	s_add_co_i32 s3, s3, s2
	s_cmp_eq_u32 s20, 0
	s_mov_b32 s20, exec_lo
	s_cselect_b32 s40, ttmp9, s3
	s_mov_b32 s3, 0
	s_wait_kmcnt 0x0
	s_abs_i32 s35, s8
	s_delay_alu instid0(SALU_CYCLE_1) | instskip(SKIP_1) | instid1(SALU_CYCLE_1)
	s_cvt_f32_u32 s2, s35
	s_mul_i32 s55, s48, s31
	s_mul_i32 s54, s55, s30
	s_delay_alu instid0(SALU_CYCLE_1) | instskip(SKIP_2) | instid1(TRANS32_DEP_1)
	v_rcp_iflag_f32_e32 v1, s2
	s_mul_i32 s33, s54, s9
	v_nop
	v_readfirstlane_b32 s2, v1
	v_cmpx_gt_i32_e64 s33, v0
	s_cbranch_execz .LBB82_23
; %bb.1:
	s_mul_f32 s2, s2, 0x4f7ffffe
	s_mov_b32 s37, s3
	s_ashr_i32 s38, s40, 31
	s_ashr_i32 s41, s8, 31
	s_cvt_u32_f32 s34, s2
	s_sub_co_i32 s2, 0, s35
	s_xor_b32 s42, s38, s41
	s_load_b256 s[20:27], s[0:1], 0x0
	s_mul_i32 s36, s2, s34
	s_abs_i32 s2, s40
	s_mul_hi_u32 s36, s34, s36
	s_mov_b32 s44, s9
	s_add_co_i32 s36, s34, s36
	s_mov_b32 s34, s4
	s_mul_u64 s[36:37], s[2:3], s[36:37]
	s_mul_i32 s71, s49, s9
	s_mul_i32 s36, s37, s35
	s_add_co_i32 s38, s37, 1
	s_sub_co_i32 s2, s2, s36
	s_mov_b32 s36, s5
	s_sub_co_i32 s39, s2, s35
	s_cmp_ge_u32 s2, s35
	v_mov_b32_e32 v3, 0
	s_cselect_b32 s37, s38, s37
	s_cselect_b32 s2, s39, s2
	s_add_co_i32 s39, s37, 1
	s_cmp_ge_u32 s2, s35
	s_mov_b32 s38, s6
	s_cselect_b32 s2, s39, s37
	s_ashr_i32 s35, s4, 31
	s_ashr_i32 s37, s5, 31
	s_xor_b32 s2, s2, s42
	s_ashr_i32 s39, s6, 31
	s_sub_co_i32 s46, s2, s42
	s_mul_u64 s[4:5], s[36:37], s[34:35]
	s_ashr_i32 s45, s9, 31
	s_mul_i32 s2, s46, s8
	s_mul_u64 s[4:5], s[4:5], s[38:39]
	s_ashr_i32 s47, s46, 31
	s_sub_co_i32 s50, s40, s2
	s_mov_b32 s40, s8
	s_mul_u64 s[52:53], s[4:5], s[44:45]
	s_ashr_i32 s5, s30, 31
	s_mov_b32 s4, s30
	s_mul_u64 s[56:57], s[46:47], s[40:41]
	s_ashr_i32 s41, s31, 31
	;; [unrolled: 3-line block ×3, first 2 shown]
	s_mov_b32 s42, s48
	s_ashr_i32 s51, s50, 31
	s_mul_u64 s[44:45], s[44:45], s[40:41]
	s_add_nc_u64 s[50:51], s[56:57], s[50:51]
	s_mul_u64 s[44:45], s[44:45], s[42:43]
	s_mul_u64 s[46:47], s[52:53], s[46:47]
	;; [unrolled: 1-line block ×3, first 2 shown]
	s_wait_kmcnt 0x0
	v_cmp_neq_f64_e64 s2, s[24:25], 1.0
	v_cmp_neq_f64_e64 s60, s[26:27], 0
	s_lshl_b64 s[52:53], s[46:47], 1
	s_lshl_b64 s[58:59], s[44:45], 1
	s_ashr_i32 s45, s10, 31
	s_ashr_i32 s47, s11, 31
	;; [unrolled: 1-line block ×3, first 2 shown]
	s_cmp_lt_i32 s7, 1
	s_add_nc_u64 s[20:21], s[20:21], s[52:53]
	s_cselect_b32 s6, -1, 0
	s_cmp_gt_i32 s10, 0
	s_mov_b32 s46, s11
	s_cselect_b32 s66, -1, 0
	s_cmp_gt_i32 s11, 0
	s_mov_b32 s56, s12
	s_cselect_b32 s67, -1, 0
	s_cmp_gt_i32 s12, 0
	s_add_nc_u64 s[22:23], s[22:23], s[58:59]
	s_cselect_b32 s68, -1, 0
	s_abs_i32 s69, s48
	s_abs_i32 s70, s31
	s_cvt_f32_u32 s44, s69
	s_clause 0x1
	s_load_b64 s[52:53], s[0:1], 0x20
	s_load_b32 s48, s[0:1], 0x11c
	s_wait_xcnt 0x0
	s_mul_i32 s0, s49, s8
	s_abs_i32 s74, s55
	v_rcp_iflag_f32_e32 v1, s44
	s_mov_b32 s44, s10
	s_cvt_f32_u32 s10, s70
	s_cvt_f32_u32 s9, s74
	s_abs_i32 s76, s30
	s_sub_co_i32 s11, 0, s70
	s_abs_i32 s77, s54
	v_nop
	v_readfirstlane_b32 s1, v1
	v_rcp_iflag_f32_e32 v1, s10
	s_or_b32 s73, s2, s60
	s_sub_co_i32 s10, 0, s69
	s_ashr_i32 s78, s55, 31
	s_mul_f32 s8, s1, 0x4f7ffffe
	s_ashr_i32 s79, s54, 31
	s_mul_u64 s[54:55], s[56:57], s[46:47]
	s_ashr_i32 s1, s0, 31
	s_cvt_u32_f32 s2, s8
	v_nop
	v_readfirstlane_b32 s8, v1
	v_rcp_iflag_f32_e32 v1, s9
	s_wait_kmcnt 0x0
	s_and_b32 s75, s48, 0xffff
	s_mul_i32 s10, s10, s2
	s_sub_co_i32 s48, 0, s76
	s_mul_f32 s8, s8, 0x4f7ffffe
	s_mul_hi_u32 s9, s2, s10
	s_cvt_f32_u32 s10, s76
	v_nop
	v_readfirstlane_b32 s30, v1
	s_cvt_u32_f32 s8, s8
	s_add_co_i32 s2, s2, s9
	v_rcp_iflag_f32_e32 v1, s10
	s_mul_u64 s[58:59], s[54:55], s[44:45]
	s_mul_i32 s11, s11, s8
	s_mul_f32 s10, s30, 0x4f7ffffe
	s_mul_hi_u32 s9, s8, s11
	s_cvt_f32_u32 s11, s77
	s_mul_u64 s[50:51], s[58:59], s[50:51]
	v_nop
	v_readfirstlane_b32 s30, v1
	s_cvt_u32_f32 s10, s10
	v_rcp_iflag_f32_e32 v1, s11
	s_lshl_b64 s[50:51], s[50:51], 1
	s_mul_u64 s[0:1], s[58:59], s[0:1]
	s_mul_f32 s11, s30, 0x4f7ffffe
	s_sub_co_i32 s30, 0, s74
	s_ashr_i32 s72, s71, 31
	s_mul_i32 s30, s30, s10
	s_cvt_u32_f32 s31, s11
	v_nop
	v_readfirstlane_b32 s11, v1
	s_mul_hi_u32 s30, s10, s30
	v_mov_b32_e32 v1, 0x7e00
	s_mul_i32 s48, s48, s31
	s_add_co_i32 s10, s10, s30
	s_mul_f32 s49, s11, 0x4f7ffffe
	s_mul_hi_u32 s30, s31, s48
	s_add_co_i32 s8, s8, s9
	s_mov_b32 s9, s3
	s_cvt_u32_f32 s48, s49
	s_sub_co_i32 s49, 0, s77
	s_mov_b32 s11, s3
	s_add_co_i32 s30, s31, s30
	s_mul_i32 s49, s49, s48
	s_mov_b32 s31, s3
	s_mul_hi_u32 s47, s48, s49
	s_mov_b32 s49, s3
	s_add_co_i32 s48, s48, s47
	s_add_nc_u64 s[50:51], s[52:53], s[50:51]
	s_lshl_b64 s[52:53], s[0:1], 1
	s_lshl_b64 s[54:55], s[54:55], 1
	;; [unrolled: 1-line block ×3, first 2 shown]
	s_sub_co_i32 s29, 0, s29
	s_mov_b32 s45, s3
	s_branch .LBB82_3
.LBB82_2:                               ;   in Loop: Header=BB82_3 Depth=1
	v_add_nc_u32_e32 v0, s75, v0
	s_delay_alu instid0(VALU_DEP_1)
	v_cmp_le_i32_e32 vcc_lo, s33, v0
	s_or_b32 s45, vcc_lo, s45
	s_wait_xcnt 0x0
	s_and_not1_b32 exec_lo, exec_lo, s45
	s_cbranch_execz .LBB82_23
.LBB82_3:                               ; =>This Loop Header: Depth=1
                                        ;     Child Loop BB82_8 Depth 2
                                        ;       Child Loop BB82_11 Depth 3
                                        ;         Child Loop BB82_14 Depth 4
                                        ;           Child Loop BB82_17 Depth 5
	v_sub_nc_u32_e32 v2, 0, v0
	s_mov_b32 s47, -1
	s_delay_alu instid0(VALU_DEP_1) | instskip(NEXT) | instid1(VALU_DEP_1)
	v_dual_ashrrev_i32 v16, 31, v0 :: v_dual_max_i32 v2, v0, v2
	v_mul_u64_e32 v[4:5], s[2:3], v[2:3]
	v_mul_u64_e32 v[6:7], s[10:11], v[2:3]
	s_delay_alu instid0(VALU_DEP_2) | instskip(NEXT) | instid1(VALU_DEP_2)
	v_mul_lo_u32 v4, v5, s69
	v_mul_lo_u32 v6, v7, s74
	s_delay_alu instid0(VALU_DEP_2) | instskip(NEXT) | instid1(VALU_DEP_2)
	v_dual_add_nc_u32 v8, 1, v5 :: v_dual_sub_nc_u32 v4, v2, v4
	v_sub_nc_u32_e32 v6, v2, v6
	s_delay_alu instid0(VALU_DEP_2) | instskip(SKIP_1) | instid1(VALU_DEP_3)
	v_cmp_le_u32_e32 vcc_lo, s69, v4
	v_add_nc_u32_e32 v9, 1, v7
	v_subrev_nc_u32_e32 v10, s74, v6
	v_cmp_le_u32_e64 s0, s74, v6
	v_cndmask_b32_e32 v5, v5, v8, vcc_lo
	v_subrev_nc_u32_e32 v8, s69, v4
	s_delay_alu instid0(VALU_DEP_3) | instskip(NEXT) | instid1(VALU_DEP_2)
	v_dual_cndmask_b32 v7, v7, v9, s0 :: v_dual_bitop2_b32 v9, s43, v16 bitop3:0x14
	v_dual_cndmask_b32 v6, v6, v10, s0 :: v_dual_cndmask_b32 v4, v4, v8, vcc_lo
	s_delay_alu instid0(VALU_DEP_2) | instskip(NEXT) | instid1(VALU_DEP_2)
	v_dual_add_nc_u32 v8, 1, v5 :: v_dual_add_nc_u32 v10, 1, v7
	v_cmp_le_u32_e32 vcc_lo, s69, v4
	s_delay_alu instid0(VALU_DEP_2) | instskip(NEXT) | instid1(VALU_DEP_4)
	v_cndmask_b32_e32 v4, v5, v8, vcc_lo
	v_cmp_le_u32_e32 vcc_lo, s74, v6
	s_delay_alu instid0(VALU_DEP_4) | instskip(SKIP_1) | instid1(VALU_DEP_2)
	v_dual_cndmask_b32 v5, v7, v10, vcc_lo :: v_dual_bitop2_b32 v11, s78, v16 bitop3:0x14
	v_mul_u64_e32 v[6:7], s[48:49], v[2:3]
	v_xor_b32_e32 v5, v5, v11
	s_delay_alu instid0(VALU_DEP_1) | instskip(NEXT) | instid1(VALU_DEP_1)
	v_dual_sub_nc_u32 v5, v5, v11 :: v_dual_bitop2_b32 v4, v4, v9 bitop3:0x14
	v_dual_mov_b32 v9, v3 :: v_dual_sub_nc_u32 v4, v4, v9
	s_delay_alu instid0(VALU_DEP_1) | instskip(NEXT) | instid1(VALU_DEP_1)
	v_dual_sub_nc_u32 v10, 0, v5 :: v_dual_sub_nc_u32 v6, 0, v4
	v_dual_mov_b32 v11, v3 :: v_dual_max_i32 v10, v5, v10
	s_delay_alu instid0(VALU_DEP_2) | instskip(NEXT) | instid1(VALU_DEP_1)
	v_max_i32_e32 v8, v4, v6
	v_mul_u64_e32 v[12:13], s[8:9], v[8:9]
	v_mul_lo_u32 v6, v7, s77
	s_delay_alu instid0(VALU_DEP_1) | instskip(SKIP_1) | instid1(VALU_DEP_2)
	v_dual_sub_nc_u32 v2, v2, v6 :: v_dual_add_nc_u32 v6, 1, v7
	v_mul_u64_e32 v[14:15], s[30:31], v[10:11]
	v_cmp_le_u32_e32 vcc_lo, s77, v2
	s_delay_alu instid0(VALU_DEP_3) | instskip(SKIP_2) | instid1(VALU_DEP_2)
	v_cndmask_b32_e32 v6, v7, v6, vcc_lo
	v_subrev_nc_u32_e32 v12, s77, v2
	v_mul_lo_u32 v9, v13, s70
	v_cndmask_b32_e32 v2, v2, v12, vcc_lo
	v_mul_lo_u32 v11, v15, s76
	s_delay_alu instid0(VALU_DEP_3) | instskip(NEXT) | instid1(VALU_DEP_3)
	v_dual_sub_nc_u32 v7, v8, v9 :: v_dual_add_nc_u32 v9, 1, v6
	v_cmp_le_u32_e32 vcc_lo, s77, v2
	s_delay_alu instid0(VALU_DEP_2) | instskip(NEXT) | instid1(VALU_DEP_4)
	v_cndmask_b32_e32 v6, v6, v9, vcc_lo
	v_dual_sub_nc_u32 v8, v10, v11 :: v_dual_bitop2_b32 v10, s79, v16 bitop3:0x14
	s_delay_alu instid0(VALU_DEP_4) | instskip(SKIP_1) | instid1(VALU_DEP_3)
	v_subrev_nc_u32_e32 v11, s70, v7
	v_cmp_le_u32_e32 vcc_lo, s70, v7
	v_subrev_nc_u32_e32 v12, s76, v8
	s_delay_alu instid0(VALU_DEP_3) | instskip(SKIP_1) | instid1(VALU_DEP_2)
	v_dual_cndmask_b32 v2, v7, v11, vcc_lo :: v_dual_bitop2_b32 v6, v6, v10 bitop3:0x14
	v_cmp_le_u32_e32 vcc_lo, s76, v8
	v_dual_sub_nc_u32 v6, v6, v10 :: v_dual_cndmask_b32 v8, v8, v12, vcc_lo
	s_delay_alu instid0(VALU_DEP_3)
	v_cmp_le_u32_e64 s0, s70, v2
	s_and_not1_b32 vcc_lo, exec_lo, s6
	v_cmp_le_u32_e64 s1, s76, v8
	s_cbranch_vccnz .LBB82_5
; %bb.4:                                ;   in Loop: Header=BB82_3 Depth=1
	v_ashrrev_i32_e32 v7, 31, v6
	s_mov_b32 s47, 0
.LBB82_5:                               ;   in Loop: Header=BB82_3 Depth=1
	v_mul_lo_u32 v11, v4, s42
	v_subrev_nc_u32_e32 v9, s70, v2
	v_subrev_nc_u32_e32 v10, s76, v8
	v_dual_ashrrev_i32 v12, 31, v4 :: v_dual_ashrrev_i32 v13, 31, v5
	s_and_not1_b32 vcc_lo, exec_lo, s47
	s_delay_alu instid0(VALU_DEP_2) | instskip(NEXT) | instid1(VALU_DEP_1)
	v_dual_cndmask_b32 v2, v2, v9, s0 :: v_dual_cndmask_b32 v4, v8, v10, s1
	v_dual_sub_nc_u32 v8, v0, v11 :: v_dual_bitop2_b32 v2, v2, v12 bitop3:0x14
	s_delay_alu instid0(VALU_DEP_2) | instskip(SKIP_1) | instid1(VALU_DEP_2)
	v_xor_b32_e32 v9, v4, v13
	v_mov_b64_e32 v[4:5], 0
	v_dual_sub_nc_u32 v10, v2, v12 :: v_dual_sub_nc_u32 v12, v9, v13
	s_cbranch_vccnz .LBB82_19
; %bb.6:                                ;   in Loop: Header=BB82_3 Depth=1
	s_delay_alu instid0(VALU_DEP_1) | instskip(NEXT) | instid1(VALU_DEP_2)
	v_mul_lo_u32 v9, v12, s16
	v_mul_lo_u32 v11, v10, s17
	v_mad_u32 v13, v8, s18, s29
	v_mov_b64_e32 v[4:5], 0
	v_ashrrev_i32_e32 v7, 31, v6
	s_mov_b32 s1, 0
	s_mov_b64 s[58:59], s[50:51]
	s_branch .LBB82_8
.LBB82_7:                               ;   in Loop: Header=BB82_8 Depth=2
	s_add_co_i32 s1, s1, 1
	s_add_nc_u64 s[58:59], s[58:59], s[52:53]
	s_cmp_eq_u32 s1, s7
	s_cbranch_scc1 .LBB82_19
.LBB82_8:                               ;   Parent Loop BB82_3 Depth=1
                                        ; =>  This Loop Header: Depth=2
                                        ;       Child Loop BB82_11 Depth 3
                                        ;         Child Loop BB82_14 Depth 4
                                        ;           Child Loop BB82_17 Depth 5
	s_and_not1_b32 vcc_lo, exec_lo, s66
	s_cbranch_vccnz .LBB82_7
; %bb.9:                                ;   in Loop: Header=BB82_8 Depth=2
	v_mad_nc_u64_u32 v[14:15], s1, s71, v[6:7]
	s_mov_b32 s47, 0
	s_mov_b64 s[60:61], s[58:59]
	s_delay_alu instid0(VALU_DEP_1) | instskip(NEXT) | instid1(VALU_DEP_1)
	v_mad_u32 v15, s1, s72, v15
	v_mul_u64_e32 v[14:15], s[34:35], v[14:15]
	s_branch .LBB82_11
.LBB82_10:                              ;   in Loop: Header=BB82_11 Depth=3
	s_add_co_i32 s47, s47, 1
	s_add_nc_u64 s[60:61], s[60:61], s[54:55]
	s_cmp_eq_u32 s47, s44
	s_cbranch_scc1 .LBB82_7
.LBB82_11:                              ;   Parent Loop BB82_3 Depth=1
                                        ;     Parent Loop BB82_8 Depth=2
                                        ; =>    This Loop Header: Depth=3
                                        ;         Child Loop BB82_14 Depth 4
                                        ;           Child Loop BB82_17 Depth 5
	s_and_not1_b32 vcc_lo, exec_lo, s67
	s_cbranch_vccnz .LBB82_10
; %bb.12:                               ;   in Loop: Header=BB82_11 Depth=3
	s_mul_i32 s0, s47, s13
	s_mov_b32 s80, 0
	s_sub_co_i32 s0, s0, s19
	s_mov_b64 s[62:63], s[60:61]
	v_add_nc_u32_e32 v2, s0, v9
	s_delay_alu instid0(VALU_DEP_1)
	v_add_nc_u64_e32 v[16:17], v[14:15], v[2:3]
	v_cmp_gt_i32_e32 vcc_lo, 0, v2
	v_cmp_le_i32_e64 s0, s34, v2
	s_or_b32 s81, vcc_lo, s0
	v_mul_u64_e32 v[16:17], s[36:37], v[16:17]
	s_branch .LBB82_14
.LBB82_13:                              ;   in Loop: Header=BB82_14 Depth=4
	s_add_co_i32 s80, s80, 1
	s_add_nc_u64 s[62:63], s[62:63], s[56:57]
	s_cmp_eq_u32 s80, s46
	s_cbranch_scc1 .LBB82_10
.LBB82_14:                              ;   Parent Loop BB82_3 Depth=1
                                        ;     Parent Loop BB82_8 Depth=2
                                        ;       Parent Loop BB82_11 Depth=3
                                        ; =>      This Loop Header: Depth=4
                                        ;           Child Loop BB82_17 Depth 5
	s_and_not1_b32 vcc_lo, exec_lo, s68
	s_cbranch_vccnz .LBB82_13
; %bb.15:                               ;   in Loop: Header=BB82_14 Depth=4
	s_mul_i32 s0, s80, s14
	s_mov_b64 s[64:65], s[62:63]
	s_sub_co_i32 s0, s0, s28
	s_mov_b32 s83, s12
	v_add_nc_u32_e32 v2, s0, v11
	s_delay_alu instid0(VALU_DEP_1)
	v_add_nc_u64_e32 v[18:19], v[16:17], v[2:3]
	v_cmp_gt_i32_e32 vcc_lo, 0, v2
	v_cmp_le_i32_e64 s0, s36, v2
	v_mov_b32_e32 v2, v13
	s_or_b32 s0, vcc_lo, s0
	v_mul_u64_e32 v[18:19], s[38:39], v[18:19]
	s_or_b32 s82, s81, s0
	s_delay_alu instid0(VALU_DEP_1)
	v_lshl_add_u64 v[18:19], v[18:19], 1, s[20:21]
	s_branch .LBB82_17
.LBB82_16:                              ;   in Loop: Header=BB82_17 Depth=5
	s_wait_xcnt 0x0
	s_or_b32 exec_lo, exec_lo, s0
	v_add_nc_u32_e32 v2, s15, v2
	s_add_co_i32 s83, s83, -1
	s_add_nc_u64 s[64:65], s[64:65], 2
	s_cmp_eq_u32 s83, 0
	s_cbranch_scc1 .LBB82_13
.LBB82_17:                              ;   Parent Loop BB82_3 Depth=1
                                        ;     Parent Loop BB82_8 Depth=2
                                        ;       Parent Loop BB82_11 Depth=3
                                        ;         Parent Loop BB82_14 Depth=4
                                        ; =>        This Inner Loop Header: Depth=5
	v_cmp_gt_i32_e32 vcc_lo, 0, v2
	v_cmp_le_i32_e64 s0, s38, v2
	s_or_b32 s0, vcc_lo, s0
	s_delay_alu instid0(SALU_CYCLE_1) | instskip(NEXT) | instid1(SALU_CYCLE_1)
	s_nor_b32 s84, s82, s0
	s_and_saveexec_b32 s0, s84
	s_cbranch_execz .LBB82_16
; %bb.18:                               ;   in Loop: Header=BB82_17 Depth=5
	v_lshl_add_u64 v[20:21], v[2:3], 1, v[18:19]
	global_load_u16 v20, v[20:21], off
	global_load_u16 v21, v3, s[64:65]
	s_wait_loadcnt 0x1
	v_cvt_f32_f16_e32 v20, v20
	s_wait_loadcnt 0x0
	v_cvt_f32_f16_e32 v22, v21
	s_delay_alu instid0(VALU_DEP_2) | instskip(NEXT) | instid1(VALU_DEP_2)
	v_cvt_f64_f32_e32 v[20:21], v20
	v_cvt_f64_f32_e32 v[22:23], v22
	s_delay_alu instid0(VALU_DEP_1)
	v_fmac_f64_e32 v[4:5], v[20:21], v[22:23]
	s_branch .LBB82_16
.LBB82_19:                              ;   in Loop: Header=BB82_3 Depth=1
	s_delay_alu instid0(VALU_DEP_1) | instskip(SKIP_3) | instid1(VALU_DEP_2)
	v_dual_ashrrev_i32 v13, 31, v12 :: v_dual_ashrrev_i32 v11, 31, v10
	v_ashrrev_i32_e32 v9, 31, v8
	s_and_b32 vcc_lo, exec_lo, s73
	s_mov_b32 s0, -1
	v_mad_nc_u64_u32 v[12:13], v6, s4, v[12:13]
	s_delay_alu instid0(VALU_DEP_1) | instskip(NEXT) | instid1(VALU_DEP_2)
	v_mad_u32 v2, v7, s4, v13
	v_mad_nc_u64_u32 v[10:11], v12, s40, v[10:11]
	s_delay_alu instid0(VALU_DEP_2) | instskip(NEXT) | instid1(VALU_DEP_2)
	v_mad_u32 v2, v6, s5, v2
	v_mad_nc_u64_u32 v[6:7], v10, s42, v[8:9]
	s_delay_alu instid0(VALU_DEP_2) | instskip(NEXT) | instid1(VALU_DEP_1)
	v_mad_u32 v2, v2, s40, v11
	v_mad_u32 v2, v12, s41, v2
	s_delay_alu instid0(VALU_DEP_1) | instskip(NEXT) | instid1(VALU_DEP_1)
	v_mad_u32 v2, v2, s42, v7
	v_mad_u32 v7, v10, s43, v2
	s_cbranch_vccz .LBB82_21
; %bb.20:                               ;   in Loop: Header=BB82_3 Depth=1
	s_delay_alu instid0(VALU_DEP_1) | instskip(SKIP_4) | instid1(VALU_DEP_1)
	v_lshl_add_u64 v[8:9], v[6:7], 1, s[22:23]
	s_mov_b32 s0, 0
	global_load_u16 v2, v[8:9], off
	s_wait_loadcnt 0x0
	v_cvt_f32_f16_e32 v2, v2
	v_cvt_f64_f32_e32 v[10:11], v2
	s_delay_alu instid0(VALU_DEP_1) | instskip(NEXT) | instid1(VALU_DEP_1)
	v_mul_f64_e32 v[10:11], s[26:27], v[10:11]
	v_fmac_f64_e32 v[10:11], s[24:25], v[4:5]
	s_delay_alu instid0(VALU_DEP_1) | instskip(SKIP_2) | instid1(VALU_DEP_3)
	v_and_or_b32 v2, 0x1ff, v11, v10
	v_lshrrev_b32_e32 v10, 8, v11
	v_bfe_u32 v12, v11, 20, 11
	v_cmp_ne_u32_e32 vcc_lo, 0, v2
	s_delay_alu instid0(VALU_DEP_2) | instskip(SKIP_2) | instid1(VALU_DEP_1)
	v_sub_nc_u32_e32 v13, 0x3f1, v12
	v_add_nc_u32_e32 v12, 0xfffffc10, v12
	v_cndmask_b32_e64 v2, 0, 1, vcc_lo
	v_and_or_b32 v2, 0xffe, v10, v2
	s_delay_alu instid0(VALU_DEP_4) | instskip(NEXT) | instid1(VALU_DEP_2)
	v_med3_i32 v10, v13, 0, 13
	v_or_b32_e32 v13, 0x1000, v2
	s_delay_alu instid0(VALU_DEP_1) | instskip(NEXT) | instid1(VALU_DEP_1)
	v_lshrrev_b32_e32 v14, v10, v13
	v_lshlrev_b32_e32 v10, v10, v14
	s_delay_alu instid0(VALU_DEP_1) | instskip(SKIP_3) | instid1(VALU_DEP_2)
	v_cmp_ne_u32_e32 vcc_lo, v10, v13
	v_lshl_or_b32 v13, v12, 12, v2
	v_cndmask_b32_e64 v10, 0, 1, vcc_lo
	v_cmp_gt_i32_e32 vcc_lo, 1, v12
	v_or_b32_e32 v10, v14, v10
	s_delay_alu instid0(VALU_DEP_1) | instskip(NEXT) | instid1(VALU_DEP_1)
	v_cndmask_b32_e32 v10, v13, v10, vcc_lo
	v_dual_lshrrev_b32 v10, 2, v10 :: v_dual_bitop2_b32 v13, 7, v10 bitop3:0x40
	s_delay_alu instid0(VALU_DEP_1) | instskip(SKIP_4) | instid1(VALU_DEP_2)
	v_cmp_lt_i32_e32 vcc_lo, 5, v13
	v_cndmask_b32_e64 v14, 0, 1, vcc_lo
	v_cmp_eq_u32_e32 vcc_lo, 3, v13
	v_cndmask_b32_e64 v13, 0, 1, vcc_lo
	v_cmp_ne_u32_e32 vcc_lo, 0, v2
	v_or_b32_e32 v13, v13, v14
	v_cndmask_b32_e32 v2, 0x7c00, v1, vcc_lo
	v_cmp_gt_i32_e32 vcc_lo, 31, v12
	s_delay_alu instid0(VALU_DEP_3) | instskip(NEXT) | instid1(VALU_DEP_1)
	v_add_nc_u32_e32 v10, v10, v13
	v_cndmask_b32_e32 v10, 0x7c00, v10, vcc_lo
	v_cmp_eq_u32_e32 vcc_lo, 0x40f, v12
	s_delay_alu instid0(VALU_DEP_2) | instskip(NEXT) | instid1(VALU_DEP_1)
	v_dual_cndmask_b32 v2, v10, v2, vcc_lo :: v_dual_lshrrev_b32 v10, 16, v11
	v_and_or_b32 v2, 0x8000, v10, v2
	global_store_b16 v[8:9], v2, off
.LBB82_21:                              ;   in Loop: Header=BB82_3 Depth=1
	s_and_not1_b32 vcc_lo, exec_lo, s0
	s_cbranch_vccnz .LBB82_2
; %bb.22:                               ;   in Loop: Header=BB82_3 Depth=1
	s_wait_xcnt 0x0
	v_and_or_b32 v2, 0x1ff, v5, v4
	v_lshrrev_b32_e32 v4, 8, v5
	v_bfe_u32 v8, v5, 20, 11
	v_lshrrev_b32_e32 v5, 16, v5
	s_delay_alu instid0(VALU_DEP_4) | instskip(NEXT) | instid1(VALU_DEP_3)
	v_cmp_ne_u32_e32 vcc_lo, 0, v2
	v_sub_nc_u32_e32 v9, 0x3f1, v8
	v_add_nc_u32_e32 v8, 0xfffffc10, v8
	v_cndmask_b32_e64 v2, 0, 1, vcc_lo
	s_delay_alu instid0(VALU_DEP_1) | instskip(NEXT) | instid1(VALU_DEP_4)
	v_and_or_b32 v2, 0xffe, v4, v2
	v_med3_i32 v4, v9, 0, 13
	s_delay_alu instid0(VALU_DEP_2) | instskip(NEXT) | instid1(VALU_DEP_1)
	v_or_b32_e32 v9, 0x1000, v2
	v_lshrrev_b32_e32 v10, v4, v9
	s_delay_alu instid0(VALU_DEP_1) | instskip(NEXT) | instid1(VALU_DEP_1)
	v_lshlrev_b32_e32 v4, v4, v10
	v_cmp_ne_u32_e32 vcc_lo, v4, v9
	v_lshl_or_b32 v9, v8, 12, v2
	v_cndmask_b32_e64 v4, 0, 1, vcc_lo
	v_cmp_gt_i32_e32 vcc_lo, 1, v8
	s_delay_alu instid0(VALU_DEP_2) | instskip(NEXT) | instid1(VALU_DEP_1)
	v_or_b32_e32 v4, v10, v4
	v_cndmask_b32_e32 v4, v9, v4, vcc_lo
	s_delay_alu instid0(VALU_DEP_1) | instskip(NEXT) | instid1(VALU_DEP_1)
	v_dual_lshrrev_b32 v4, 2, v4 :: v_dual_bitop2_b32 v9, 7, v4 bitop3:0x40
	v_cmp_lt_i32_e32 vcc_lo, 5, v9
	v_cndmask_b32_e64 v10, 0, 1, vcc_lo
	v_cmp_eq_u32_e32 vcc_lo, 3, v9
	v_cndmask_b32_e64 v9, 0, 1, vcc_lo
	v_cmp_ne_u32_e32 vcc_lo, 0, v2
	s_delay_alu instid0(VALU_DEP_2) | instskip(SKIP_2) | instid1(VALU_DEP_3)
	v_or_b32_e32 v9, v9, v10
	v_cndmask_b32_e32 v2, 0x7c00, v1, vcc_lo
	v_cmp_gt_i32_e32 vcc_lo, 31, v8
	v_add_nc_u32_e32 v4, v4, v9
	s_delay_alu instid0(VALU_DEP_1) | instskip(SKIP_1) | instid1(VALU_DEP_2)
	v_cndmask_b32_e32 v4, 0x7c00, v4, vcc_lo
	v_cmp_eq_u32_e32 vcc_lo, 0x40f, v8
	v_cndmask_b32_e32 v2, v4, v2, vcc_lo
	s_delay_alu instid0(VALU_DEP_1)
	v_and_or_b32 v2, 0x8000, v5, v2
	v_lshl_add_u64 v[4:5], v[6:7], 1, s[22:23]
	global_store_b16 v[4:5], v2, off
	s_branch .LBB82_2
.LBB82_23:
	s_endpgm
	.section	.rodata,"a",@progbits
	.p2align	6, 0x0
	.amdhsa_kernel naive_conv_ab_packed_wrw_ncdhw_half_double_half
		.amdhsa_group_segment_fixed_size 0
		.amdhsa_private_segment_fixed_size 0
		.amdhsa_kernarg_size 528
		.amdhsa_user_sgpr_count 2
		.amdhsa_user_sgpr_dispatch_ptr 0
		.amdhsa_user_sgpr_queue_ptr 0
		.amdhsa_user_sgpr_kernarg_segment_ptr 1
		.amdhsa_user_sgpr_dispatch_id 0
		.amdhsa_user_sgpr_kernarg_preload_length 0
		.amdhsa_user_sgpr_kernarg_preload_offset 0
		.amdhsa_user_sgpr_private_segment_size 0
		.amdhsa_wavefront_size32 1
		.amdhsa_uses_dynamic_stack 0
		.amdhsa_enable_private_segment 0
		.amdhsa_system_sgpr_workgroup_id_x 1
		.amdhsa_system_sgpr_workgroup_id_y 0
		.amdhsa_system_sgpr_workgroup_id_z 0
		.amdhsa_system_sgpr_workgroup_info 0
		.amdhsa_system_vgpr_workitem_id 0
		.amdhsa_next_free_vgpr 24
		.amdhsa_next_free_sgpr 85
		.amdhsa_named_barrier_count 0
		.amdhsa_reserve_vcc 1
		.amdhsa_float_round_mode_32 0
		.amdhsa_float_round_mode_16_64 0
		.amdhsa_float_denorm_mode_32 3
		.amdhsa_float_denorm_mode_16_64 3
		.amdhsa_fp16_overflow 0
		.amdhsa_memory_ordered 1
		.amdhsa_forward_progress 1
		.amdhsa_inst_pref_size 20
		.amdhsa_round_robin_scheduling 0
		.amdhsa_exception_fp_ieee_invalid_op 0
		.amdhsa_exception_fp_denorm_src 0
		.amdhsa_exception_fp_ieee_div_zero 0
		.amdhsa_exception_fp_ieee_overflow 0
		.amdhsa_exception_fp_ieee_underflow 0
		.amdhsa_exception_fp_ieee_inexact 0
		.amdhsa_exception_int_div_zero 0
	.end_amdhsa_kernel
	.text
.Lfunc_end82:
	.size	naive_conv_ab_packed_wrw_ncdhw_half_double_half, .Lfunc_end82-naive_conv_ab_packed_wrw_ncdhw_half_double_half
                                        ; -- End function
	.set naive_conv_ab_packed_wrw_ncdhw_half_double_half.num_vgpr, 24
	.set naive_conv_ab_packed_wrw_ncdhw_half_double_half.num_agpr, 0
	.set naive_conv_ab_packed_wrw_ncdhw_half_double_half.numbered_sgpr, 85
	.set naive_conv_ab_packed_wrw_ncdhw_half_double_half.num_named_barrier, 0
	.set naive_conv_ab_packed_wrw_ncdhw_half_double_half.private_seg_size, 0
	.set naive_conv_ab_packed_wrw_ncdhw_half_double_half.uses_vcc, 1
	.set naive_conv_ab_packed_wrw_ncdhw_half_double_half.uses_flat_scratch, 0
	.set naive_conv_ab_packed_wrw_ncdhw_half_double_half.has_dyn_sized_stack, 0
	.set naive_conv_ab_packed_wrw_ncdhw_half_double_half.has_recursion, 0
	.set naive_conv_ab_packed_wrw_ncdhw_half_double_half.has_indirect_call, 0
	.section	.AMDGPU.csdata,"",@progbits
; Kernel info:
; codeLenInByte = 2524
; TotalNumSgprs: 87
; NumVgprs: 24
; ScratchSize: 0
; MemoryBound: 0
; FloatMode: 240
; IeeeMode: 1
; LDSByteSize: 0 bytes/workgroup (compile time only)
; SGPRBlocks: 0
; VGPRBlocks: 1
; NumSGPRsForWavesPerEU: 87
; NumVGPRsForWavesPerEU: 24
; NamedBarCnt: 0
; Occupancy: 16
; WaveLimiterHint : 0
; COMPUTE_PGM_RSRC2:SCRATCH_EN: 0
; COMPUTE_PGM_RSRC2:USER_SGPR: 2
; COMPUTE_PGM_RSRC2:TRAP_HANDLER: 0
; COMPUTE_PGM_RSRC2:TGID_X_EN: 1
; COMPUTE_PGM_RSRC2:TGID_Y_EN: 0
; COMPUTE_PGM_RSRC2:TGID_Z_EN: 0
; COMPUTE_PGM_RSRC2:TIDIG_COMP_CNT: 0
	.text
	.protected	naive_conv_ab_nonpacked_wrw_ncdhw_half_double_half ; -- Begin function naive_conv_ab_nonpacked_wrw_ncdhw_half_double_half
	.globl	naive_conv_ab_nonpacked_wrw_ncdhw_half_double_half
	.p2align	8
	.type	naive_conv_ab_nonpacked_wrw_ncdhw_half_double_half,@function
naive_conv_ab_nonpacked_wrw_ncdhw_half_double_half: ; @naive_conv_ab_nonpacked_wrw_ncdhw_half_double_half
; %bb.0:
	s_clause 0x2
	s_load_b512 s[4:19], s[0:1], 0xb8
	s_load_b32 s33, s[0:1], 0x108
	s_load_b128 s[28:31], s[0:1], 0xf8
	s_bfe_u32 s2, ttmp6, 0x4000c
	s_and_b32 s3, ttmp6, 15
	s_add_co_i32 s2, s2, 1
	s_getreg_b32 s20, hwreg(HW_REG_IB_STS2, 6, 4)
	s_mul_i32 s2, ttmp9, s2
	s_delay_alu instid0(SALU_CYCLE_1)
	s_add_co_i32 s3, s3, s2
	s_cmp_eq_u32 s20, 0
	s_cselect_b32 s34, ttmp9, s3
	s_mov_b32 s3, 0
	s_wait_kmcnt 0x0
	s_abs_i32 s20, s8
	s_delay_alu instid0(SALU_CYCLE_1) | instskip(SKIP_1) | instid1(SALU_CYCLE_1)
	s_cvt_f32_u32 s2, s20
	s_mul_i32 s73, s33, s31
	s_mul_i32 s72, s73, s30
	s_delay_alu instid0(SALU_CYCLE_1) | instskip(SKIP_3) | instid1(TRANS32_DEP_1)
	v_rcp_iflag_f32_e32 v1, s2
	s_mul_i32 s76, s72, s9
	s_mov_b32 s9, exec_lo
	v_nop
	v_readfirstlane_b32 s2, v1
	v_cmpx_gt_i32_e64 s76, v0
	s_cbranch_execz .LBB83_23
; %bb.1:
	s_mul_f32 s2, s2, 0x4f7ffffe
	s_sub_co_i32 s22, 0, s20
	s_mov_b32 s23, s3
	s_ashr_i32 s9, s34, 31
	s_cvt_u32_f32 s21, s2
	s_abs_i32 s2, s34
	s_ashr_i32 s24, s8, 31
	s_load_b512 s[36:51], s[0:1], 0x28
	s_mul_i32 s22, s22, s21
	s_load_b512 s[52:67], s[0:1], 0x68
	s_mul_hi_u32 s22, s21, s22
	s_load_b128 s[68:71], s[0:1], 0xa8
	s_add_co_i32 s22, s21, s22
	s_xor_b32 s9, s9, s24
	s_mul_u64 s[22:23], s[2:3], s[22:23]
	v_mov_b32_e32 v3, 0
	s_mul_i32 s21, s23, s20
	s_mov_b32 s91, 0
	s_sub_co_i32 s2, s2, s21
	s_add_co_i32 s21, s23, 1
	s_sub_co_i32 s22, s2, s20
	s_cmp_ge_u32 s2, s20
	s_cselect_b32 s21, s21, s23
	s_cselect_b32 s2, s22, s2
	s_add_co_i32 s22, s21, 1
	s_cmp_ge_u32 s2, s20
	s_cselect_b32 s2, s22, s21
	s_load_b256 s[20:27], s[0:1], 0x0
	s_xor_b32 s2, s2, s9
	s_delay_alu instid0(SALU_CYCLE_1)
	s_sub_co_i32 s74, s2, s9
	s_load_b32 s2, s[0:1], 0x11c
	s_mul_i32 s8, s74, s8
	s_ashr_i32 s75, s74, 31
	s_sub_co_i32 s8, s34, s8
	s_wait_kmcnt 0x0
	s_mul_u64 s[34:35], s[44:45], s[74:75]
	s_ashr_i32 s9, s8, 31
	s_mul_u64 s[44:45], s[58:59], s[74:75]
	s_mul_u64 s[58:59], s[68:69], s[74:75]
	;; [unrolled: 1-line block ×4, first 2 shown]
	s_lshl_b64 s[34:35], s[34:35], 1
	s_lshl_b64 s[44:45], s[44:45], 1
	;; [unrolled: 1-line block ×5, first 2 shown]
	s_cmp_lt_i32 s7, 1
	s_load_b64 s[0:1], s[0:1], 0x20
	s_cselect_b32 s77, -1, 0
	s_cmp_gt_i32 s10, 0
	v_cmp_neq_f64_e64 s68, s[24:25], 1.0
	s_cselect_b32 s78, -1, 0
	s_cmp_gt_i32 s11, 0
	v_cmp_neq_f64_e64 s69, s[26:27], 0
	s_cselect_b32 s79, -1, 0
	s_cmp_gt_i32 s12, 0
	s_cselect_b32 s80, -1, 0
	s_abs_i32 s81, s33
	s_abs_i32 s82, s31
	s_cvt_f32_u32 s8, s81
	s_cvt_f32_u32 s31, s82
	s_abs_i32 s85, s73
	s_and_b32 s83, s2, 0xffff
	v_rcp_iflag_f32_e32 v1, s8
	v_rcp_iflag_f32_e32 v2, s31
	s_cvt_f32_u32 s2, s85
	s_wait_kmcnt 0x0
	s_add_nc_u64 s[0:1], s[0:1], s[58:59]
	s_add_nc_u64 s[8:9], s[20:21], s[34:35]
	s_add_nc_u64 s[20:21], s[22:23], s[44:45]
	s_add_nc_u64 s[22:23], s[0:1], s[66:67]
	v_nop
	v_readfirstlane_b32 s31, v1
	v_rcp_iflag_f32_e32 v1, s2
	v_readfirstlane_b32 s0, v2
	s_abs_i32 s87, s30
	s_abs_i32 s88, s72
	s_mul_f32 s1, s31, 0x4f7ffffe
	s_cvt_f32_u32 s34, s87
	s_mul_f32 s0, s0, 0x4f7ffffe
	s_sub_co_i32 s31, 0, s81
	s_cvt_u32_f32 s1, s1
	v_readfirstlane_b32 s35, v1
	v_rcp_iflag_f32_e32 v1, s34
	s_cvt_f32_u32 s34, s88
	s_mul_i32 s31, s31, s1
	s_cvt_u32_f32 s0, s0
	s_mul_hi_u32 s2, s1, s31
	s_sub_co_i32 s31, 0, s82
	s_add_co_i32 s30, s1, s2
	s_mul_f32 s2, s35, 0x4f7ffffe
	v_rcp_iflag_f32_e32 v2, s34
	s_mul_i32 s1, s31, s0
	v_readfirstlane_b32 s44, v1
	s_mul_hi_u32 s1, s0, s1
	s_cvt_u32_f32 s2, s2
	s_add_co_i32 s34, s0, s1
	s_sub_co_i32 s0, 0, s85
	v_readfirstlane_b32 s45, v2
	s_mul_i32 s0, s0, s2
	s_mul_f32 s1, s44, 0x4f7ffffe
	s_mul_hi_u32 s0, s2, s0
	s_add_nc_u64 s[20:21], s[20:21], s[56:57]
	s_add_co_i32 s44, s2, s0
	s_cvt_u32_f32 s0, s1
	s_mul_f32 s1, s45, 0x4f7ffffe
	s_sub_co_i32 s2, 0, s87
	s_sub_co_i32 s57, 0, s88
	s_mul_i32 s2, s2, s0
	s_cvt_u32_f32 s1, s1
	s_mul_hi_u32 s2, s0, s2
	v_mov_b32_e32 v1, 0x7e00
	s_add_co_i32 s56, s0, s2
	s_mul_i32 s0, s57, s1
	s_ashr_i32 s84, s33, 31
	s_mul_hi_u32 s0, s1, s0
	s_or_b32 s86, s68, s69
	s_mov_b32 s31, s3
	s_mov_b32 s35, s3
	s_ashr_i32 s89, s73, 31
	s_mov_b32 s45, s3
	s_mov_b32 s57, s3
	s_ashr_i32 s90, s72, 31
	s_add_co_i32 s58, s1, s0
	s_mov_b32 s59, s3
	s_lshl_b64 s[66:67], s[70:71], 1
	s_lshl_b64 s[64:65], s[64:65], 1
	;; [unrolled: 1-line block ×4, first 2 shown]
	s_sub_co_i32 s29, 0, s29
	s_branch .LBB83_3
.LBB83_2:                               ;   in Loop: Header=BB83_3 Depth=1
	v_add_nc_u32_e32 v0, s83, v0
	s_delay_alu instid0(VALU_DEP_1)
	v_cmp_le_i32_e32 vcc_lo, s76, v0
	s_or_b32 s91, vcc_lo, s91
	s_wait_xcnt 0x0
	s_and_not1_b32 exec_lo, exec_lo, s91
	s_cbranch_execz .LBB83_23
.LBB83_3:                               ; =>This Loop Header: Depth=1
                                        ;     Child Loop BB83_8 Depth 2
                                        ;       Child Loop BB83_11 Depth 3
                                        ;         Child Loop BB83_14 Depth 4
                                        ;           Child Loop BB83_17 Depth 5
	v_sub_nc_u32_e32 v2, 0, v0
	s_mov_b32 s2, -1
	s_delay_alu instid0(VALU_DEP_1) | instskip(NEXT) | instid1(VALU_DEP_1)
	v_dual_ashrrev_i32 v16, 31, v0 :: v_dual_max_i32 v2, v0, v2
	v_mul_u64_e32 v[4:5], s[30:31], v[2:3]
	v_mul_u64_e32 v[6:7], s[44:45], v[2:3]
	s_delay_alu instid0(VALU_DEP_2) | instskip(NEXT) | instid1(VALU_DEP_2)
	v_mul_lo_u32 v4, v5, s81
	v_mul_lo_u32 v6, v7, s85
	s_delay_alu instid0(VALU_DEP_2) | instskip(NEXT) | instid1(VALU_DEP_2)
	v_dual_add_nc_u32 v8, 1, v5 :: v_dual_sub_nc_u32 v4, v2, v4
	v_sub_nc_u32_e32 v6, v2, v6
	s_delay_alu instid0(VALU_DEP_2) | instskip(SKIP_1) | instid1(VALU_DEP_3)
	v_cmp_le_u32_e32 vcc_lo, s81, v4
	v_add_nc_u32_e32 v9, 1, v7
	v_subrev_nc_u32_e32 v10, s85, v6
	v_cmp_le_u32_e64 s0, s85, v6
	v_cndmask_b32_e32 v5, v5, v8, vcc_lo
	v_subrev_nc_u32_e32 v8, s81, v4
	s_delay_alu instid0(VALU_DEP_3) | instskip(NEXT) | instid1(VALU_DEP_2)
	v_dual_cndmask_b32 v7, v7, v9, s0 :: v_dual_bitop2_b32 v9, s84, v16 bitop3:0x14
	v_dual_cndmask_b32 v6, v6, v10, s0 :: v_dual_cndmask_b32 v4, v4, v8, vcc_lo
	s_delay_alu instid0(VALU_DEP_2) | instskip(NEXT) | instid1(VALU_DEP_2)
	v_dual_add_nc_u32 v8, 1, v5 :: v_dual_add_nc_u32 v10, 1, v7
	v_cmp_le_u32_e32 vcc_lo, s81, v4
	s_delay_alu instid0(VALU_DEP_2) | instskip(NEXT) | instid1(VALU_DEP_4)
	v_cndmask_b32_e32 v4, v5, v8, vcc_lo
	v_cmp_le_u32_e32 vcc_lo, s85, v6
	s_delay_alu instid0(VALU_DEP_4) | instskip(SKIP_1) | instid1(VALU_DEP_2)
	v_dual_cndmask_b32 v5, v7, v10, vcc_lo :: v_dual_bitop2_b32 v11, s89, v16 bitop3:0x14
	v_mul_u64_e32 v[6:7], s[58:59], v[2:3]
	v_xor_b32_e32 v5, v5, v11
	s_delay_alu instid0(VALU_DEP_1) | instskip(NEXT) | instid1(VALU_DEP_1)
	v_dual_sub_nc_u32 v5, v5, v11 :: v_dual_bitop2_b32 v4, v4, v9 bitop3:0x14
	v_dual_mov_b32 v9, v3 :: v_dual_sub_nc_u32 v4, v4, v9
	s_delay_alu instid0(VALU_DEP_1) | instskip(NEXT) | instid1(VALU_DEP_1)
	v_dual_sub_nc_u32 v10, 0, v5 :: v_dual_sub_nc_u32 v6, 0, v4
	v_dual_mov_b32 v11, v3 :: v_dual_max_i32 v10, v5, v10
	s_delay_alu instid0(VALU_DEP_2) | instskip(NEXT) | instid1(VALU_DEP_1)
	v_max_i32_e32 v8, v4, v6
	v_mul_u64_e32 v[12:13], s[34:35], v[8:9]
	v_mul_lo_u32 v6, v7, s88
	s_delay_alu instid0(VALU_DEP_1) | instskip(SKIP_1) | instid1(VALU_DEP_2)
	v_dual_sub_nc_u32 v2, v2, v6 :: v_dual_add_nc_u32 v6, 1, v7
	v_mul_u64_e32 v[14:15], s[56:57], v[10:11]
	v_cmp_le_u32_e32 vcc_lo, s88, v2
	s_delay_alu instid0(VALU_DEP_3) | instskip(SKIP_2) | instid1(VALU_DEP_2)
	v_cndmask_b32_e32 v6, v7, v6, vcc_lo
	v_subrev_nc_u32_e32 v12, s88, v2
	v_mul_lo_u32 v9, v13, s82
	v_cndmask_b32_e32 v2, v2, v12, vcc_lo
	v_mul_lo_u32 v11, v15, s87
	s_delay_alu instid0(VALU_DEP_3) | instskip(NEXT) | instid1(VALU_DEP_3)
	v_dual_sub_nc_u32 v7, v8, v9 :: v_dual_add_nc_u32 v9, 1, v6
	v_cmp_le_u32_e32 vcc_lo, s88, v2
	s_delay_alu instid0(VALU_DEP_2) | instskip(NEXT) | instid1(VALU_DEP_4)
	v_cndmask_b32_e32 v6, v6, v9, vcc_lo
	v_dual_sub_nc_u32 v8, v10, v11 :: v_dual_bitop2_b32 v10, s90, v16 bitop3:0x14
	s_delay_alu instid0(VALU_DEP_4) | instskip(SKIP_1) | instid1(VALU_DEP_3)
	v_subrev_nc_u32_e32 v11, s82, v7
	v_cmp_le_u32_e32 vcc_lo, s82, v7
	v_subrev_nc_u32_e32 v12, s87, v8
	s_delay_alu instid0(VALU_DEP_3) | instskip(SKIP_1) | instid1(VALU_DEP_2)
	v_dual_cndmask_b32 v2, v7, v11, vcc_lo :: v_dual_bitop2_b32 v6, v6, v10 bitop3:0x14
	v_cmp_le_u32_e32 vcc_lo, s87, v8
	v_dual_sub_nc_u32 v6, v6, v10 :: v_dual_cndmask_b32 v8, v8, v12, vcc_lo
	s_delay_alu instid0(VALU_DEP_3)
	v_cmp_le_u32_e64 s0, s82, v2
	s_and_not1_b32 vcc_lo, exec_lo, s77
	v_cmp_le_u32_e64 s1, s87, v8
	s_cbranch_vccnz .LBB83_5
; %bb.4:                                ;   in Loop: Header=BB83_3 Depth=1
	v_ashrrev_i32_e32 v7, 31, v6
	s_mov_b32 s2, 0
.LBB83_5:                               ;   in Loop: Header=BB83_3 Depth=1
	v_mul_lo_u32 v11, v4, s33
	v_subrev_nc_u32_e32 v9, s82, v2
	v_subrev_nc_u32_e32 v10, s87, v8
	v_dual_ashrrev_i32 v12, 31, v4 :: v_dual_ashrrev_i32 v13, 31, v5
	s_and_not1_b32 vcc_lo, exec_lo, s2
	s_delay_alu instid0(VALU_DEP_2) | instskip(NEXT) | instid1(VALU_DEP_1)
	v_dual_cndmask_b32 v2, v2, v9, s0 :: v_dual_cndmask_b32 v4, v8, v10, s1
	v_dual_sub_nc_u32 v8, v0, v11 :: v_dual_bitop2_b32 v2, v2, v12 bitop3:0x14
	s_delay_alu instid0(VALU_DEP_2) | instskip(SKIP_1) | instid1(VALU_DEP_2)
	v_xor_b32_e32 v9, v4, v13
	v_mov_b64_e32 v[4:5], 0
	v_dual_sub_nc_u32 v19, v2, v12 :: v_dual_sub_nc_u32 v18, v9, v13
	s_cbranch_vccnz .LBB83_19
; %bb.6:                                ;   in Loop: Header=BB83_3 Depth=1
	v_ashrrev_i32_e32 v7, 31, v6
	s_delay_alu instid0(VALU_DEP_2) | instskip(NEXT) | instid1(VALU_DEP_3)
	v_mul_lo_u32 v9, v18, s16
	v_mul_lo_u32 v20, v19, s17
	v_mad_u32 v21, v8, s18, s29
	v_mov_b64_e32 v[4:5], 0
	v_mul_u64_e32 v[10:11], s[42:43], v[6:7]
	s_mov_b32 s2, 0
	s_mov_b64 s[68:69], s[22:23]
	s_delay_alu instid0(VALU_DEP_1)
	v_lshl_add_u64 v[10:11], v[10:11], 1, s[8:9]
	s_branch .LBB83_8
.LBB83_7:                               ;   in Loop: Header=BB83_8 Depth=2
	s_add_co_i32 s2, s2, 1
	s_add_nc_u64 s[68:69], s[68:69], s[66:67]
	s_cmp_eq_u32 s2, s7
	s_cbranch_scc1 .LBB83_19
.LBB83_8:                               ;   Parent Loop BB83_3 Depth=1
                                        ; =>  This Loop Header: Depth=2
                                        ;       Child Loop BB83_11 Depth 3
                                        ;         Child Loop BB83_14 Depth 4
                                        ;           Child Loop BB83_17 Depth 5
	s_and_not1_b32 vcc_lo, exec_lo, s78
	s_cbranch_vccnz .LBB83_7
; %bb.9:                                ;   in Loop: Header=BB83_8 Depth=2
	s_mul_u64 s[0:1], s[46:47], s[2:3]
	s_mov_b64 s[70:71], s[68:69]
	v_lshl_add_u64 v[12:13], s[0:1], 1, v[10:11]
	s_mov_b32 s1, 0
	s_branch .LBB83_11
.LBB83_10:                              ;   in Loop: Header=BB83_11 Depth=3
	s_add_co_i32 s1, s1, 1
	s_add_nc_u64 s[70:71], s[70:71], s[64:65]
	s_cmp_eq_u32 s1, s10
	s_cbranch_scc1 .LBB83_7
.LBB83_11:                              ;   Parent Loop BB83_3 Depth=1
                                        ;     Parent Loop BB83_8 Depth=2
                                        ; =>    This Loop Header: Depth=3
                                        ;         Child Loop BB83_14 Depth 4
                                        ;           Child Loop BB83_17 Depth 5
	s_and_not1_b32 vcc_lo, exec_lo, s79
	s_cbranch_vccnz .LBB83_10
; %bb.12:                               ;   in Loop: Header=BB83_11 Depth=3
	s_mul_i32 s0, s1, s13
	s_mov_b32 s92, 0
	s_sub_co_i32 s0, s0, s19
	s_mov_b64 s[72:73], s[70:71]
	v_add_nc_u32_e32 v2, s0, v9
	s_delay_alu instid0(VALU_DEP_1)
	v_mul_u64_e32 v[14:15], s[40:41], v[2:3]
	v_cmp_gt_i32_e32 vcc_lo, 0, v2
	v_cmp_le_i32_e64 s0, s4, v2
	s_or_b32 s93, vcc_lo, s0
	v_lshl_add_u64 v[14:15], v[14:15], 1, v[12:13]
	s_branch .LBB83_14
.LBB83_13:                              ;   in Loop: Header=BB83_14 Depth=4
	s_add_co_i32 s92, s92, 1
	s_add_nc_u64 s[72:73], s[72:73], s[62:63]
	s_cmp_eq_u32 s92, s11
	s_cbranch_scc1 .LBB83_10
.LBB83_14:                              ;   Parent Loop BB83_3 Depth=1
                                        ;     Parent Loop BB83_8 Depth=2
                                        ;       Parent Loop BB83_11 Depth=3
                                        ; =>      This Loop Header: Depth=4
                                        ;           Child Loop BB83_17 Depth 5
	s_and_not1_b32 vcc_lo, exec_lo, s80
	s_cbranch_vccnz .LBB83_13
; %bb.15:                               ;   in Loop: Header=BB83_14 Depth=4
	s_mul_i32 s0, s92, s14
	s_mov_b64 s[74:75], s[72:73]
	s_sub_co_i32 s0, s0, s28
	s_mov_b32 s95, s12
	v_add_nc_u32_e32 v2, s0, v20
	s_delay_alu instid0(VALU_DEP_1) | instskip(SKIP_4) | instid1(SALU_CYCLE_1)
	v_mul_u64_e32 v[16:17], s[38:39], v[2:3]
	v_cmp_gt_i32_e32 vcc_lo, 0, v2
	v_cmp_le_i32_e64 s0, s5, v2
	v_mov_b32_e32 v2, v21
	s_or_b32 s0, vcc_lo, s0
	s_or_b32 s94, s93, s0
	v_lshl_add_u64 v[16:17], v[16:17], 1, v[14:15]
	s_branch .LBB83_17
.LBB83_16:                              ;   in Loop: Header=BB83_17 Depth=5
	s_wait_xcnt 0x0
	s_or_b32 exec_lo, exec_lo, s0
	v_add_nc_u32_e32 v2, s15, v2
	s_add_co_i32 s95, s95, -1
	s_add_nc_u64 s[74:75], s[74:75], s[60:61]
	s_cmp_eq_u32 s95, 0
	s_cbranch_scc1 .LBB83_13
.LBB83_17:                              ;   Parent Loop BB83_3 Depth=1
                                        ;     Parent Loop BB83_8 Depth=2
                                        ;       Parent Loop BB83_11 Depth=3
                                        ;         Parent Loop BB83_14 Depth=4
                                        ; =>        This Inner Loop Header: Depth=5
	v_cmp_gt_i32_e32 vcc_lo, 0, v2
	v_cmp_le_i32_e64 s0, s6, v2
	s_or_b32 s0, vcc_lo, s0
	s_delay_alu instid0(SALU_CYCLE_1) | instskip(NEXT) | instid1(SALU_CYCLE_1)
	s_nor_b32 s96, s94, s0
	s_and_saveexec_b32 s0, s96
	s_cbranch_execz .LBB83_16
; %bb.18:                               ;   in Loop: Header=BB83_17 Depth=5
	v_mul_u64_e32 v[22:23], s[36:37], v[2:3]
	s_delay_alu instid0(VALU_DEP_1)
	v_lshl_add_u64 v[22:23], v[22:23], 1, v[16:17]
	global_load_u16 v22, v[22:23], off
	global_load_u16 v23, v3, s[74:75]
	s_wait_loadcnt 0x1
	v_cvt_f32_f16_e32 v22, v22
	s_wait_loadcnt 0x0
	v_cvt_f32_f16_e32 v24, v23
	s_delay_alu instid0(VALU_DEP_2) | instskip(NEXT) | instid1(VALU_DEP_2)
	v_cvt_f64_f32_e32 v[22:23], v22
	v_cvt_f64_f32_e32 v[24:25], v24
	s_delay_alu instid0(VALU_DEP_1)
	v_fmac_f64_e32 v[4:5], v[22:23], v[24:25]
	s_branch .LBB83_16
.LBB83_19:                              ;   in Loop: Header=BB83_3 Depth=1
	v_ashrrev_i32_e32 v9, 31, v8
	s_and_b32 vcc_lo, exec_lo, s86
	s_mov_b32 s0, -1
	s_delay_alu instid0(VALU_DEP_1) | instskip(NEXT) | instid1(VALU_DEP_1)
	v_mul_u64_e32 v[8:9], s[48:49], v[8:9]
	v_mad_nc_u64_u32 v[8:9], s50, v19, v[8:9]
	s_delay_alu instid0(VALU_DEP_1) | instskip(SKIP_1) | instid1(VALU_DEP_1)
	v_mad_u32 v2, s51, v19, v9
	v_ashrrev_i32_e32 v9, 31, v19
	v_mad_u32 v9, s50, v9, v2
	s_delay_alu instid0(VALU_DEP_1) | instskip(NEXT) | instid1(VALU_DEP_1)
	v_mad_nc_u64_u32 v[8:9], s52, v18, v[8:9]
	v_mad_u32 v2, s53, v18, v9
	v_ashrrev_i32_e32 v9, 31, v18
	s_delay_alu instid0(VALU_DEP_1) | instskip(NEXT) | instid1(VALU_DEP_1)
	v_mad_u32 v9, s52, v9, v2
	v_mad_nc_u64_u32 v[8:9], v6, s54, v[8:9]
	s_delay_alu instid0(VALU_DEP_1) | instskip(NEXT) | instid1(VALU_DEP_1)
	v_mad_u32 v2, v7, s54, v9
	v_mad_u32 v9, v6, s55, v2
	s_cbranch_vccz .LBB83_21
; %bb.20:                               ;   in Loop: Header=BB83_3 Depth=1
	s_delay_alu instid0(VALU_DEP_1) | instskip(SKIP_4) | instid1(VALU_DEP_1)
	v_lshl_add_u64 v[6:7], v[8:9], 1, s[20:21]
	s_mov_b32 s0, 0
	global_load_u16 v2, v[6:7], off
	s_wait_loadcnt 0x0
	v_cvt_f32_f16_e32 v2, v2
	v_cvt_f64_f32_e32 v[10:11], v2
	s_delay_alu instid0(VALU_DEP_1) | instskip(NEXT) | instid1(VALU_DEP_1)
	v_mul_f64_e32 v[10:11], s[26:27], v[10:11]
	v_fmac_f64_e32 v[10:11], s[24:25], v[4:5]
	s_delay_alu instid0(VALU_DEP_1) | instskip(SKIP_2) | instid1(VALU_DEP_3)
	v_and_or_b32 v2, 0x1ff, v11, v10
	v_lshrrev_b32_e32 v10, 8, v11
	v_bfe_u32 v12, v11, 20, 11
	v_cmp_ne_u32_e32 vcc_lo, 0, v2
	s_delay_alu instid0(VALU_DEP_2) | instskip(SKIP_2) | instid1(VALU_DEP_1)
	v_sub_nc_u32_e32 v13, 0x3f1, v12
	v_add_nc_u32_e32 v12, 0xfffffc10, v12
	v_cndmask_b32_e64 v2, 0, 1, vcc_lo
	v_and_or_b32 v2, 0xffe, v10, v2
	s_delay_alu instid0(VALU_DEP_4) | instskip(NEXT) | instid1(VALU_DEP_2)
	v_med3_i32 v10, v13, 0, 13
	v_or_b32_e32 v13, 0x1000, v2
	s_delay_alu instid0(VALU_DEP_1) | instskip(NEXT) | instid1(VALU_DEP_1)
	v_lshrrev_b32_e32 v14, v10, v13
	v_lshlrev_b32_e32 v10, v10, v14
	s_delay_alu instid0(VALU_DEP_1) | instskip(SKIP_3) | instid1(VALU_DEP_2)
	v_cmp_ne_u32_e32 vcc_lo, v10, v13
	v_lshl_or_b32 v13, v12, 12, v2
	v_cndmask_b32_e64 v10, 0, 1, vcc_lo
	v_cmp_gt_i32_e32 vcc_lo, 1, v12
	v_or_b32_e32 v10, v14, v10
	s_delay_alu instid0(VALU_DEP_1) | instskip(NEXT) | instid1(VALU_DEP_1)
	v_cndmask_b32_e32 v10, v13, v10, vcc_lo
	v_dual_lshrrev_b32 v10, 2, v10 :: v_dual_bitop2_b32 v13, 7, v10 bitop3:0x40
	s_delay_alu instid0(VALU_DEP_1) | instskip(SKIP_4) | instid1(VALU_DEP_2)
	v_cmp_lt_i32_e32 vcc_lo, 5, v13
	v_cndmask_b32_e64 v14, 0, 1, vcc_lo
	v_cmp_eq_u32_e32 vcc_lo, 3, v13
	v_cndmask_b32_e64 v13, 0, 1, vcc_lo
	v_cmp_ne_u32_e32 vcc_lo, 0, v2
	v_or_b32_e32 v13, v13, v14
	v_cndmask_b32_e32 v2, 0x7c00, v1, vcc_lo
	v_cmp_gt_i32_e32 vcc_lo, 31, v12
	s_delay_alu instid0(VALU_DEP_3) | instskip(NEXT) | instid1(VALU_DEP_1)
	v_add_nc_u32_e32 v10, v10, v13
	v_cndmask_b32_e32 v10, 0x7c00, v10, vcc_lo
	v_cmp_eq_u32_e32 vcc_lo, 0x40f, v12
	s_delay_alu instid0(VALU_DEP_2) | instskip(NEXT) | instid1(VALU_DEP_1)
	v_dual_cndmask_b32 v2, v10, v2, vcc_lo :: v_dual_lshrrev_b32 v10, 16, v11
	v_and_or_b32 v2, 0x8000, v10, v2
	global_store_b16 v[6:7], v2, off
.LBB83_21:                              ;   in Loop: Header=BB83_3 Depth=1
	s_and_not1_b32 vcc_lo, exec_lo, s0
	s_cbranch_vccnz .LBB83_2
; %bb.22:                               ;   in Loop: Header=BB83_3 Depth=1
	s_wait_xcnt 0x0
	v_and_or_b32 v2, 0x1ff, v5, v4
	v_lshrrev_b32_e32 v4, 8, v5
	v_bfe_u32 v6, v5, 20, 11
	v_lshrrev_b32_e32 v5, 16, v5
	s_delay_alu instid0(VALU_DEP_4) | instskip(NEXT) | instid1(VALU_DEP_3)
	v_cmp_ne_u32_e32 vcc_lo, 0, v2
	v_sub_nc_u32_e32 v7, 0x3f1, v6
	v_add_nc_u32_e32 v6, 0xfffffc10, v6
	v_cndmask_b32_e64 v2, 0, 1, vcc_lo
	s_delay_alu instid0(VALU_DEP_1) | instskip(NEXT) | instid1(VALU_DEP_4)
	v_and_or_b32 v2, 0xffe, v4, v2
	v_med3_i32 v4, v7, 0, 13
	s_delay_alu instid0(VALU_DEP_2) | instskip(NEXT) | instid1(VALU_DEP_1)
	v_or_b32_e32 v7, 0x1000, v2
	v_lshrrev_b32_e32 v10, v4, v7
	s_delay_alu instid0(VALU_DEP_1) | instskip(NEXT) | instid1(VALU_DEP_1)
	v_lshlrev_b32_e32 v4, v4, v10
	v_cmp_ne_u32_e32 vcc_lo, v4, v7
	v_lshl_or_b32 v7, v6, 12, v2
	v_cndmask_b32_e64 v4, 0, 1, vcc_lo
	v_cmp_gt_i32_e32 vcc_lo, 1, v6
	s_delay_alu instid0(VALU_DEP_2) | instskip(NEXT) | instid1(VALU_DEP_1)
	v_or_b32_e32 v4, v10, v4
	v_cndmask_b32_e32 v4, v7, v4, vcc_lo
	s_delay_alu instid0(VALU_DEP_1) | instskip(NEXT) | instid1(VALU_DEP_1)
	v_dual_lshrrev_b32 v4, 2, v4 :: v_dual_bitop2_b32 v7, 7, v4 bitop3:0x40
	v_cmp_lt_i32_e32 vcc_lo, 5, v7
	v_cndmask_b32_e64 v10, 0, 1, vcc_lo
	v_cmp_eq_u32_e32 vcc_lo, 3, v7
	v_cndmask_b32_e64 v7, 0, 1, vcc_lo
	v_cmp_ne_u32_e32 vcc_lo, 0, v2
	s_delay_alu instid0(VALU_DEP_2) | instskip(SKIP_2) | instid1(VALU_DEP_3)
	v_or_b32_e32 v7, v7, v10
	v_cndmask_b32_e32 v2, 0x7c00, v1, vcc_lo
	v_cmp_gt_i32_e32 vcc_lo, 31, v6
	v_add_nc_u32_e32 v4, v4, v7
	s_delay_alu instid0(VALU_DEP_1) | instskip(SKIP_1) | instid1(VALU_DEP_2)
	v_cndmask_b32_e32 v4, 0x7c00, v4, vcc_lo
	v_cmp_eq_u32_e32 vcc_lo, 0x40f, v6
	v_cndmask_b32_e32 v2, v4, v2, vcc_lo
	s_delay_alu instid0(VALU_DEP_1)
	v_and_or_b32 v2, 0x8000, v5, v2
	v_lshl_add_u64 v[4:5], v[8:9], 1, s[20:21]
	global_store_b16 v[4:5], v2, off
	s_branch .LBB83_2
.LBB83_23:
	s_endpgm
	.section	.rodata,"a",@progbits
	.p2align	6, 0x0
	.amdhsa_kernel naive_conv_ab_nonpacked_wrw_ncdhw_half_double_half
		.amdhsa_group_segment_fixed_size 0
		.amdhsa_private_segment_fixed_size 0
		.amdhsa_kernarg_size 528
		.amdhsa_user_sgpr_count 2
		.amdhsa_user_sgpr_dispatch_ptr 0
		.amdhsa_user_sgpr_queue_ptr 0
		.amdhsa_user_sgpr_kernarg_segment_ptr 1
		.amdhsa_user_sgpr_dispatch_id 0
		.amdhsa_user_sgpr_kernarg_preload_length 0
		.amdhsa_user_sgpr_kernarg_preload_offset 0
		.amdhsa_user_sgpr_private_segment_size 0
		.amdhsa_wavefront_size32 1
		.amdhsa_uses_dynamic_stack 0
		.amdhsa_enable_private_segment 0
		.amdhsa_system_sgpr_workgroup_id_x 1
		.amdhsa_system_sgpr_workgroup_id_y 0
		.amdhsa_system_sgpr_workgroup_id_z 0
		.amdhsa_system_sgpr_workgroup_info 0
		.amdhsa_system_vgpr_workitem_id 0
		.amdhsa_next_free_vgpr 26
		.amdhsa_next_free_sgpr 97
		.amdhsa_named_barrier_count 0
		.amdhsa_reserve_vcc 1
		.amdhsa_float_round_mode_32 0
		.amdhsa_float_round_mode_16_64 0
		.amdhsa_float_denorm_mode_32 3
		.amdhsa_float_denorm_mode_16_64 3
		.amdhsa_fp16_overflow 0
		.amdhsa_memory_ordered 1
		.amdhsa_forward_progress 1
		.amdhsa_inst_pref_size 19
		.amdhsa_round_robin_scheduling 0
		.amdhsa_exception_fp_ieee_invalid_op 0
		.amdhsa_exception_fp_denorm_src 0
		.amdhsa_exception_fp_ieee_div_zero 0
		.amdhsa_exception_fp_ieee_overflow 0
		.amdhsa_exception_fp_ieee_underflow 0
		.amdhsa_exception_fp_ieee_inexact 0
		.amdhsa_exception_int_div_zero 0
	.end_amdhsa_kernel
	.text
.Lfunc_end83:
	.size	naive_conv_ab_nonpacked_wrw_ncdhw_half_double_half, .Lfunc_end83-naive_conv_ab_nonpacked_wrw_ncdhw_half_double_half
                                        ; -- End function
	.set naive_conv_ab_nonpacked_wrw_ncdhw_half_double_half.num_vgpr, 26
	.set naive_conv_ab_nonpacked_wrw_ncdhw_half_double_half.num_agpr, 0
	.set naive_conv_ab_nonpacked_wrw_ncdhw_half_double_half.numbered_sgpr, 97
	.set naive_conv_ab_nonpacked_wrw_ncdhw_half_double_half.num_named_barrier, 0
	.set naive_conv_ab_nonpacked_wrw_ncdhw_half_double_half.private_seg_size, 0
	.set naive_conv_ab_nonpacked_wrw_ncdhw_half_double_half.uses_vcc, 1
	.set naive_conv_ab_nonpacked_wrw_ncdhw_half_double_half.uses_flat_scratch, 0
	.set naive_conv_ab_nonpacked_wrw_ncdhw_half_double_half.has_dyn_sized_stack, 0
	.set naive_conv_ab_nonpacked_wrw_ncdhw_half_double_half.has_recursion, 0
	.set naive_conv_ab_nonpacked_wrw_ncdhw_half_double_half.has_indirect_call, 0
	.section	.AMDGPU.csdata,"",@progbits
; Kernel info:
; codeLenInByte = 2428
; TotalNumSgprs: 99
; NumVgprs: 26
; ScratchSize: 0
; MemoryBound: 0
; FloatMode: 240
; IeeeMode: 1
; LDSByteSize: 0 bytes/workgroup (compile time only)
; SGPRBlocks: 0
; VGPRBlocks: 1
; NumSGPRsForWavesPerEU: 99
; NumVGPRsForWavesPerEU: 26
; NamedBarCnt: 0
; Occupancy: 16
; WaveLimiterHint : 0
; COMPUTE_PGM_RSRC2:SCRATCH_EN: 0
; COMPUTE_PGM_RSRC2:USER_SGPR: 2
; COMPUTE_PGM_RSRC2:TRAP_HANDLER: 0
; COMPUTE_PGM_RSRC2:TGID_X_EN: 1
; COMPUTE_PGM_RSRC2:TGID_Y_EN: 0
; COMPUTE_PGM_RSRC2:TGID_Z_EN: 0
; COMPUTE_PGM_RSRC2:TIDIG_COMP_CNT: 0
	.text
	.protected	naive_conv_ab_packed_wrw_ncdhw_ushort_double_ushort ; -- Begin function naive_conv_ab_packed_wrw_ncdhw_ushort_double_ushort
	.globl	naive_conv_ab_packed_wrw_ncdhw_ushort_double_ushort
	.p2align	8
	.type	naive_conv_ab_packed_wrw_ncdhw_ushort_double_ushort,@function
naive_conv_ab_packed_wrw_ncdhw_ushort_double_ushort: ; @naive_conv_ab_packed_wrw_ncdhw_ushort_double_ushort
; %bb.0:
	s_clause 0x2
	s_load_b512 s[4:19], s[0:1], 0xb8
	s_load_b64 s[48:49], s[0:1], 0x108
	s_load_b128 s[28:31], s[0:1], 0xf8
	s_bfe_u32 s2, ttmp6, 0x4000c
	s_and_b32 s3, ttmp6, 15
	s_add_co_i32 s2, s2, 1
	s_getreg_b32 s20, hwreg(HW_REG_IB_STS2, 6, 4)
	s_mul_i32 s2, ttmp9, s2
	s_delay_alu instid0(SALU_CYCLE_1)
	s_add_co_i32 s3, s3, s2
	s_cmp_eq_u32 s20, 0
	s_mov_b32 s20, exec_lo
	s_cselect_b32 s40, ttmp9, s3
	s_mov_b32 s3, 0
	s_wait_kmcnt 0x0
	s_abs_i32 s35, s8
	s_delay_alu instid0(SALU_CYCLE_1) | instskip(SKIP_1) | instid1(SALU_CYCLE_1)
	s_cvt_f32_u32 s2, s35
	s_mul_i32 s55, s48, s31
	s_mul_i32 s54, s55, s30
	s_delay_alu instid0(SALU_CYCLE_1) | instskip(SKIP_2) | instid1(TRANS32_DEP_1)
	v_rcp_iflag_f32_e32 v1, s2
	s_mul_i32 s33, s54, s9
	v_nop
	v_readfirstlane_b32 s2, v1
	v_cmpx_gt_i32_e64 s33, v0
	s_cbranch_execz .LBB84_23
; %bb.1:
	s_mul_f32 s2, s2, 0x4f7ffffe
	s_mov_b32 s37, s3
	s_ashr_i32 s38, s40, 31
	s_ashr_i32 s41, s8, 31
	s_cvt_u32_f32 s34, s2
	s_sub_co_i32 s2, 0, s35
	s_xor_b32 s42, s38, s41
	s_load_b256 s[20:27], s[0:1], 0x0
	s_mul_i32 s36, s2, s34
	s_abs_i32 s2, s40
	s_mul_hi_u32 s36, s34, s36
	s_mov_b32 s44, s9
	s_add_co_i32 s36, s34, s36
	s_mov_b32 s34, s4
	s_mul_u64 s[36:37], s[2:3], s[36:37]
	s_mul_i32 s71, s49, s9
	s_mul_i32 s36, s37, s35
	s_add_co_i32 s38, s37, 1
	s_sub_co_i32 s2, s2, s36
	s_mov_b32 s36, s5
	s_sub_co_i32 s39, s2, s35
	s_cmp_ge_u32 s2, s35
	v_mov_b32_e32 v3, 0
	s_cselect_b32 s37, s38, s37
	s_cselect_b32 s2, s39, s2
	s_add_co_i32 s39, s37, 1
	s_cmp_ge_u32 s2, s35
	s_mov_b32 s38, s6
	s_cselect_b32 s2, s39, s37
	s_ashr_i32 s35, s4, 31
	s_ashr_i32 s37, s5, 31
	s_xor_b32 s2, s2, s42
	s_ashr_i32 s39, s6, 31
	s_sub_co_i32 s46, s2, s42
	s_mul_u64 s[4:5], s[36:37], s[34:35]
	s_ashr_i32 s45, s9, 31
	s_mul_i32 s2, s46, s8
	s_mul_u64 s[4:5], s[4:5], s[38:39]
	s_ashr_i32 s47, s46, 31
	s_sub_co_i32 s50, s40, s2
	s_mov_b32 s40, s8
	s_mul_u64 s[52:53], s[4:5], s[44:45]
	s_ashr_i32 s5, s30, 31
	s_mov_b32 s4, s30
	s_mul_u64 s[56:57], s[46:47], s[40:41]
	s_ashr_i32 s41, s31, 31
	;; [unrolled: 3-line block ×3, first 2 shown]
	s_mov_b32 s42, s48
	s_ashr_i32 s51, s50, 31
	s_mul_u64 s[44:45], s[44:45], s[40:41]
	s_add_nc_u64 s[50:51], s[56:57], s[50:51]
	s_mul_u64 s[44:45], s[44:45], s[42:43]
	s_mul_u64 s[46:47], s[52:53], s[46:47]
	;; [unrolled: 1-line block ×3, first 2 shown]
	s_wait_kmcnt 0x0
	v_cmp_neq_f64_e64 s2, s[24:25], 1.0
	v_cmp_neq_f64_e64 s60, s[26:27], 0
	s_lshl_b64 s[52:53], s[46:47], 1
	s_lshl_b64 s[58:59], s[44:45], 1
	s_ashr_i32 s45, s10, 31
	s_ashr_i32 s47, s11, 31
	s_ashr_i32 s57, s12, 31
	s_cmp_lt_i32 s7, 1
	s_add_nc_u64 s[20:21], s[20:21], s[52:53]
	s_cselect_b32 s6, -1, 0
	s_cmp_gt_i32 s10, 0
	s_mov_b32 s46, s11
	s_cselect_b32 s66, -1, 0
	s_cmp_gt_i32 s11, 0
	s_mov_b32 s56, s12
	s_cselect_b32 s67, -1, 0
	s_cmp_gt_i32 s12, 0
	s_add_nc_u64 s[22:23], s[22:23], s[58:59]
	s_cselect_b32 s68, -1, 0
	s_abs_i32 s69, s48
	s_abs_i32 s70, s31
	s_cvt_f32_u32 s44, s69
	s_clause 0x1
	s_load_b64 s[52:53], s[0:1], 0x20
	s_load_b32 s48, s[0:1], 0x11c
	s_wait_xcnt 0x0
	s_mul_i32 s0, s49, s8
	s_abs_i32 s74, s55
	v_rcp_iflag_f32_e32 v1, s44
	s_mov_b32 s44, s10
	s_cvt_f32_u32 s10, s70
	s_cvt_f32_u32 s9, s74
	s_abs_i32 s76, s30
	s_sub_co_i32 s11, 0, s70
	s_abs_i32 s77, s54
	v_nop
	v_readfirstlane_b32 s1, v1
	v_rcp_iflag_f32_e32 v1, s10
	s_or_b32 s73, s2, s60
	s_sub_co_i32 s10, 0, s69
	s_ashr_i32 s78, s55, 31
	s_mul_f32 s8, s1, 0x4f7ffffe
	s_ashr_i32 s79, s54, 31
	s_mul_u64 s[54:55], s[56:57], s[46:47]
	s_ashr_i32 s1, s0, 31
	s_cvt_u32_f32 s2, s8
	v_nop
	v_readfirstlane_b32 s8, v1
	v_rcp_iflag_f32_e32 v1, s9
	s_wait_kmcnt 0x0
	s_and_b32 s75, s48, 0xffff
	s_mul_i32 s10, s10, s2
	s_sub_co_i32 s48, 0, s76
	s_mul_f32 s8, s8, 0x4f7ffffe
	s_mul_hi_u32 s9, s2, s10
	s_cvt_f32_u32 s10, s76
	v_nop
	v_readfirstlane_b32 s30, v1
	s_cvt_u32_f32 s8, s8
	s_add_co_i32 s2, s2, s9
	v_rcp_iflag_f32_e32 v1, s10
	s_mul_u64 s[58:59], s[54:55], s[44:45]
	s_mul_i32 s11, s11, s8
	s_mul_f32 s10, s30, 0x4f7ffffe
	s_mul_hi_u32 s9, s8, s11
	s_cvt_f32_u32 s11, s77
	s_mul_u64 s[50:51], s[58:59], s[50:51]
	v_nop
	v_readfirstlane_b32 s30, v1
	s_cvt_u32_f32 s10, s10
	v_rcp_iflag_f32_e32 v1, s11
	s_lshl_b64 s[50:51], s[50:51], 1
	s_mul_u64 s[0:1], s[58:59], s[0:1]
	s_mul_f32 s11, s30, 0x4f7ffffe
	s_sub_co_i32 s30, 0, s74
	s_ashr_i32 s72, s71, 31
	s_mul_i32 s30, s30, s10
	s_cvt_u32_f32 s31, s11
	v_nop
	v_readfirstlane_b32 s11, v1
	s_mul_hi_u32 s30, s10, s30
	s_add_co_i32 s8, s8, s9
	s_mul_i32 s48, s48, s31
	s_add_co_i32 s10, s10, s30
	s_mul_f32 s49, s11, 0x4f7ffffe
	s_mul_hi_u32 s30, s31, s48
	s_mov_b32 s9, s3
	s_mov_b32 s11, s3
	s_cvt_u32_f32 s48, s49
	s_sub_co_i32 s49, 0, s77
	s_add_co_i32 s30, s31, s30
	s_mov_b32 s31, s3
	s_mul_i32 s49, s49, s48
	s_add_nc_u64 s[50:51], s[52:53], s[50:51]
	s_mul_hi_u32 s47, s48, s49
	s_mov_b32 s49, s3
	s_add_co_i32 s48, s48, s47
	s_lshl_b64 s[52:53], s[0:1], 1
	s_lshl_b64 s[54:55], s[54:55], 1
	;; [unrolled: 1-line block ×3, first 2 shown]
	s_sub_co_i32 s29, 0, s29
	s_mov_b32 s45, s3
	s_branch .LBB84_3
.LBB84_2:                               ;   in Loop: Header=BB84_3 Depth=1
	v_add_nc_u32_e32 v0, s75, v0
	s_delay_alu instid0(VALU_DEP_1)
	v_cmp_le_i32_e32 vcc_lo, s33, v0
	s_or_b32 s45, vcc_lo, s45
	s_wait_xcnt 0x0
	s_and_not1_b32 exec_lo, exec_lo, s45
	s_cbranch_execz .LBB84_23
.LBB84_3:                               ; =>This Loop Header: Depth=1
                                        ;     Child Loop BB84_8 Depth 2
                                        ;       Child Loop BB84_11 Depth 3
                                        ;         Child Loop BB84_14 Depth 4
                                        ;           Child Loop BB84_17 Depth 5
	v_sub_nc_u32_e32 v1, 0, v0
	s_mov_b32 s47, -1
	s_delay_alu instid0(VALU_DEP_1) | instskip(NEXT) | instid1(VALU_DEP_1)
	v_dual_ashrrev_i32 v16, 31, v0 :: v_dual_max_i32 v2, v0, v1
	v_mul_u64_e32 v[4:5], s[2:3], v[2:3]
	v_mul_u64_e32 v[6:7], s[10:11], v[2:3]
	s_delay_alu instid0(VALU_DEP_2) | instskip(NEXT) | instid1(VALU_DEP_2)
	v_mul_lo_u32 v1, v5, s69
	v_mul_lo_u32 v4, v7, s74
	v_add_nc_u32_e32 v6, 1, v5
	s_delay_alu instid0(VALU_DEP_2) | instskip(NEXT) | instid1(VALU_DEP_1)
	v_dual_sub_nc_u32 v1, v2, v1 :: v_dual_sub_nc_u32 v4, v2, v4
	v_cmp_le_u32_e32 vcc_lo, s69, v1
	v_add_nc_u32_e32 v8, 1, v7
	s_delay_alu instid0(VALU_DEP_3) | instskip(SKIP_3) | instid1(VALU_DEP_4)
	v_cmp_le_u32_e64 s0, s74, v4
	v_subrev_nc_u32_e32 v9, s74, v4
	v_cndmask_b32_e32 v5, v5, v6, vcc_lo
	v_subrev_nc_u32_e32 v6, s69, v1
	v_cndmask_b32_e64 v7, v7, v8, s0
	s_delay_alu instid0(VALU_DEP_2) | instskip(NEXT) | instid1(VALU_DEP_4)
	v_dual_cndmask_b32 v1, v1, v6, vcc_lo :: v_dual_bitop2_b32 v8, s43, v16 bitop3:0x14
	v_add_nc_u32_e32 v6, 1, v5
	s_delay_alu instid0(VALU_DEP_3) | instskip(NEXT) | instid1(VALU_DEP_3)
	v_dual_cndmask_b32 v4, v4, v9, s0 :: v_dual_add_nc_u32 v9, 1, v7
	v_cmp_le_u32_e32 vcc_lo, s69, v1
	s_delay_alu instid0(VALU_DEP_3) | instskip(NEXT) | instid1(VALU_DEP_3)
	v_dual_cndmask_b32 v1, v5, v6, vcc_lo :: v_dual_bitop2_b32 v10, s78, v16 bitop3:0x14
	v_cmp_le_u32_e32 vcc_lo, s74, v4
	s_delay_alu instid0(VALU_DEP_2) | instskip(SKIP_1) | instid1(VALU_DEP_2)
	v_dual_cndmask_b32 v4, v7, v9, vcc_lo :: v_dual_bitop2_b32 v1, v1, v8 bitop3:0x14
	v_mul_u64_e32 v[6:7], s[48:49], v[2:3]
	v_dual_mov_b32 v9, v3 :: v_dual_sub_nc_u32 v1, v1, v8
	s_delay_alu instid0(VALU_DEP_1) | instskip(NEXT) | instid1(VALU_DEP_1)
	v_dual_sub_nc_u32 v5, 0, v1 :: v_dual_bitop2_b32 v4, v4, v10 bitop3:0x14
	v_dual_mov_b32 v11, v3 :: v_dual_sub_nc_u32 v4, v4, v10
	s_delay_alu instid0(VALU_DEP_1) | instskip(NEXT) | instid1(VALU_DEP_1)
	v_dual_sub_nc_u32 v6, 0, v4 :: v_dual_max_i32 v8, v1, v5
	v_mul_u64_e32 v[12:13], s[8:9], v[8:9]
	v_mul_lo_u32 v5, v7, s77
	s_delay_alu instid0(VALU_DEP_1) | instskip(NEXT) | instid1(VALU_DEP_1)
	v_dual_sub_nc_u32 v2, v2, v5 :: v_dual_max_i32 v10, v4, v6
	v_mul_u64_e32 v[14:15], s[30:31], v[10:11]
	s_delay_alu instid0(VALU_DEP_2) | instskip(SKIP_3) | instid1(VALU_DEP_2)
	v_subrev_nc_u32_e32 v11, s77, v2
	v_cmp_le_u32_e32 vcc_lo, s77, v2
	v_mul_lo_u32 v6, v13, s70
	v_add_nc_u32_e32 v5, 1, v7
	v_dual_cndmask_b32 v2, v2, v11, vcc_lo :: v_dual_sub_nc_u32 v6, v8, v6
	s_delay_alu instid0(VALU_DEP_2) | instskip(NEXT) | instid1(VALU_DEP_2)
	v_cndmask_b32_e32 v5, v7, v5, vcc_lo
	v_cmp_le_u32_e32 vcc_lo, s77, v2
	v_mul_lo_u32 v9, v15, s76
	s_delay_alu instid0(VALU_DEP_1) | instskip(SKIP_2) | instid1(VALU_DEP_3)
	v_dual_sub_nc_u32 v7, v10, v9 :: v_dual_bitop2_b32 v9, s79, v16 bitop3:0x14
	v_subrev_nc_u32_e32 v10, s70, v6
	v_add_nc_u32_e32 v8, 1, v5
	v_subrev_nc_u32_e32 v11, s76, v7
	s_delay_alu instid0(VALU_DEP_2) | instskip(SKIP_3) | instid1(VALU_DEP_2)
	v_cndmask_b32_e32 v8, v5, v8, vcc_lo
	v_cmp_le_u32_e32 vcc_lo, s70, v6
	v_cndmask_b32_e32 v2, v6, v10, vcc_lo
	v_cmp_le_u32_e32 vcc_lo, s76, v7
	v_cmp_le_u32_e64 s0, s70, v2
	v_dual_cndmask_b32 v5, v7, v11, vcc_lo :: v_dual_bitop2_b32 v6, v8, v9 bitop3:0x14
	s_and_not1_b32 vcc_lo, exec_lo, s6
	s_delay_alu instid0(VALU_DEP_1) | instskip(NEXT) | instid1(VALU_DEP_2)
	v_cmp_le_u32_e64 s1, s76, v5
	v_sub_nc_u32_e32 v6, v6, v9
	s_cbranch_vccnz .LBB84_5
; %bb.4:                                ;   in Loop: Header=BB84_3 Depth=1
	s_delay_alu instid0(VALU_DEP_1)
	v_ashrrev_i32_e32 v7, 31, v6
	s_mov_b32 s47, 0
.LBB84_5:                               ;   in Loop: Header=BB84_3 Depth=1
	v_subrev_nc_u32_e32 v8, s70, v2
	v_subrev_nc_u32_e32 v9, s76, v5
	v_mul_lo_u32 v10, v1, s42
	v_dual_ashrrev_i32 v1, 31, v1 :: v_dual_ashrrev_i32 v11, 31, v4
	s_delay_alu instid0(VALU_DEP_3) | instskip(SKIP_1) | instid1(VALU_DEP_1)
	v_dual_cndmask_b32 v2, v2, v8, s0 :: v_dual_cndmask_b32 v4, v5, v9, s1
	s_and_not1_b32 vcc_lo, exec_lo, s47
	v_xor_b32_e32 v2, v2, v1
	s_delay_alu instid0(VALU_DEP_2) | instskip(SKIP_1) | instid1(VALU_DEP_3)
	v_xor_b32_e32 v9, v4, v11
	v_mov_b64_e32 v[4:5], 0
	v_dual_sub_nc_u32 v8, v0, v10 :: v_dual_sub_nc_u32 v10, v2, v1
	s_delay_alu instid0(VALU_DEP_3)
	v_sub_nc_u32_e32 v12, v9, v11
	s_cbranch_vccnz .LBB84_19
; %bb.6:                                ;   in Loop: Header=BB84_3 Depth=1
	s_delay_alu instid0(VALU_DEP_1) | instskip(NEXT) | instid1(VALU_DEP_3)
	v_mul_lo_u32 v1, v12, s16
	v_mul_lo_u32 v9, v10, s17
	v_mad_u32 v11, v8, s18, s29
	v_mov_b64_e32 v[4:5], 0
	v_ashrrev_i32_e32 v7, 31, v6
	s_mov_b32 s1, 0
	s_mov_b64 s[58:59], s[50:51]
	s_branch .LBB84_8
.LBB84_7:                               ;   in Loop: Header=BB84_8 Depth=2
	s_add_co_i32 s1, s1, 1
	s_add_nc_u64 s[58:59], s[58:59], s[52:53]
	s_cmp_eq_u32 s1, s7
	s_cbranch_scc1 .LBB84_19
.LBB84_8:                               ;   Parent Loop BB84_3 Depth=1
                                        ; =>  This Loop Header: Depth=2
                                        ;       Child Loop BB84_11 Depth 3
                                        ;         Child Loop BB84_14 Depth 4
                                        ;           Child Loop BB84_17 Depth 5
	s_and_not1_b32 vcc_lo, exec_lo, s66
	s_cbranch_vccnz .LBB84_7
; %bb.9:                                ;   in Loop: Header=BB84_8 Depth=2
	v_mad_nc_u64_u32 v[14:15], s1, s71, v[6:7]
	s_mov_b32 s47, 0
	s_mov_b64 s[60:61], s[58:59]
	s_delay_alu instid0(VALU_DEP_1) | instskip(NEXT) | instid1(VALU_DEP_1)
	v_mad_u32 v15, s1, s72, v15
	v_mul_u64_e32 v[14:15], s[34:35], v[14:15]
	s_branch .LBB84_11
.LBB84_10:                              ;   in Loop: Header=BB84_11 Depth=3
	s_add_co_i32 s47, s47, 1
	s_add_nc_u64 s[60:61], s[60:61], s[54:55]
	s_cmp_eq_u32 s47, s44
	s_cbranch_scc1 .LBB84_7
.LBB84_11:                              ;   Parent Loop BB84_3 Depth=1
                                        ;     Parent Loop BB84_8 Depth=2
                                        ; =>    This Loop Header: Depth=3
                                        ;         Child Loop BB84_14 Depth 4
                                        ;           Child Loop BB84_17 Depth 5
	s_and_not1_b32 vcc_lo, exec_lo, s67
	s_cbranch_vccnz .LBB84_10
; %bb.12:                               ;   in Loop: Header=BB84_11 Depth=3
	s_mul_i32 s0, s47, s13
	s_mov_b32 s80, 0
	s_sub_co_i32 s0, s0, s19
	s_mov_b64 s[62:63], s[60:61]
	v_add_nc_u32_e32 v2, s0, v1
	s_delay_alu instid0(VALU_DEP_1)
	v_add_nc_u64_e32 v[16:17], v[14:15], v[2:3]
	v_cmp_gt_i32_e32 vcc_lo, 0, v2
	v_cmp_le_i32_e64 s0, s34, v2
	s_or_b32 s81, vcc_lo, s0
	v_mul_u64_e32 v[16:17], s[36:37], v[16:17]
	s_branch .LBB84_14
.LBB84_13:                              ;   in Loop: Header=BB84_14 Depth=4
	s_add_co_i32 s80, s80, 1
	s_add_nc_u64 s[62:63], s[62:63], s[56:57]
	s_cmp_eq_u32 s80, s46
	s_cbranch_scc1 .LBB84_10
.LBB84_14:                              ;   Parent Loop BB84_3 Depth=1
                                        ;     Parent Loop BB84_8 Depth=2
                                        ;       Parent Loop BB84_11 Depth=3
                                        ; =>      This Loop Header: Depth=4
                                        ;           Child Loop BB84_17 Depth 5
	s_and_not1_b32 vcc_lo, exec_lo, s68
	s_cbranch_vccnz .LBB84_13
; %bb.15:                               ;   in Loop: Header=BB84_14 Depth=4
	s_mul_i32 s0, s80, s14
	s_mov_b64 s[64:65], s[62:63]
	s_sub_co_i32 s0, s0, s28
	s_mov_b32 s83, s12
	v_add_nc_u32_e32 v2, s0, v9
	s_delay_alu instid0(VALU_DEP_1)
	v_add_nc_u64_e32 v[18:19], v[16:17], v[2:3]
	v_cmp_gt_i32_e32 vcc_lo, 0, v2
	v_cmp_le_i32_e64 s0, s36, v2
	v_mov_b32_e32 v2, v11
	s_or_b32 s0, vcc_lo, s0
	v_mul_u64_e32 v[18:19], s[38:39], v[18:19]
	s_or_b32 s82, s81, s0
	s_delay_alu instid0(VALU_DEP_1)
	v_lshl_add_u64 v[18:19], v[18:19], 1, s[20:21]
	s_branch .LBB84_17
.LBB84_16:                              ;   in Loop: Header=BB84_17 Depth=5
	s_or_b32 exec_lo, exec_lo, s0
	v_add_nc_u32_e32 v2, s15, v2
	s_add_co_i32 s83, s83, -1
	s_add_nc_u64 s[64:65], s[64:65], 2
	s_cmp_eq_u32 s83, 0
	s_cbranch_scc1 .LBB84_13
.LBB84_17:                              ;   Parent Loop BB84_3 Depth=1
                                        ;     Parent Loop BB84_8 Depth=2
                                        ;       Parent Loop BB84_11 Depth=3
                                        ;         Parent Loop BB84_14 Depth=4
                                        ; =>        This Inner Loop Header: Depth=5
	v_cmp_gt_i32_e32 vcc_lo, 0, v2
	v_cmp_le_i32_e64 s0, s38, v2
	s_or_b32 s0, vcc_lo, s0
	s_delay_alu instid0(SALU_CYCLE_1) | instskip(NEXT) | instid1(SALU_CYCLE_1)
	s_nor_b32 s84, s82, s0
	s_and_saveexec_b32 s0, s84
	s_cbranch_execz .LBB84_16
; %bb.18:                               ;   in Loop: Header=BB84_17 Depth=5
	v_lshl_add_u64 v[20:21], v[2:3], 1, v[18:19]
	s_load_u16 s84, s[64:65], 0x0
	global_load_u16 v13, v[20:21], off
	s_wait_kmcnt 0x0
	s_lshl_b32 s84, s84, 16
	s_wait_xcnt 0x0
	v_cvt_f64_f32_e32 v[20:21], s84
	s_wait_loadcnt 0x0
	v_lshlrev_b32_e32 v13, 16, v13
	s_delay_alu instid0(VALU_DEP_1) | instskip(NEXT) | instid1(VALU_DEP_1)
	v_cvt_f64_f32_e32 v[22:23], v13
	v_fmac_f64_e32 v[4:5], v[22:23], v[20:21]
	s_branch .LBB84_16
.LBB84_19:                              ;   in Loop: Header=BB84_3 Depth=1
	s_delay_alu instid0(VALU_DEP_1) | instskip(NEXT) | instid1(VALU_DEP_3)
	v_dual_ashrrev_i32 v13, 31, v12 :: v_dual_ashrrev_i32 v11, 31, v10
	v_ashrrev_i32_e32 v9, 31, v8
	s_and_b32 vcc_lo, exec_lo, s73
	s_mov_b32 s0, -1
	s_delay_alu instid0(VALU_DEP_2) | instskip(NEXT) | instid1(VALU_DEP_1)
	v_mad_nc_u64_u32 v[12:13], v6, s4, v[12:13]
	v_mad_u32 v1, v7, s4, v13
	s_delay_alu instid0(VALU_DEP_2) | instskip(NEXT) | instid1(VALU_DEP_2)
	v_mad_nc_u64_u32 v[10:11], v12, s40, v[10:11]
	v_mad_u32 v1, v6, s5, v1
	s_delay_alu instid0(VALU_DEP_2) | instskip(NEXT) | instid1(VALU_DEP_2)
	v_mad_nc_u64_u32 v[6:7], v10, s42, v[8:9]
	v_mad_u32 v1, v1, s40, v11
	s_delay_alu instid0(VALU_DEP_1) | instskip(NEXT) | instid1(VALU_DEP_1)
	v_mad_u32 v1, v12, s41, v1
	v_mad_u32 v1, v1, s42, v7
	s_delay_alu instid0(VALU_DEP_1)
	v_mad_u32 v7, v10, s43, v1
	s_cbranch_vccz .LBB84_21
; %bb.20:                               ;   in Loop: Header=BB84_3 Depth=1
	s_delay_alu instid0(VALU_DEP_1) | instskip(SKIP_3) | instid1(VALU_DEP_1)
	v_lshl_add_u64 v[8:9], v[6:7], 1, s[22:23]
	global_load_u16 v1, v[8:9], off
	s_wait_loadcnt 0x0
	v_lshlrev_b32_e32 v1, 16, v1
	v_cvt_f64_f32_e32 v[10:11], v1
	s_delay_alu instid0(VALU_DEP_1) | instskip(NEXT) | instid1(VALU_DEP_1)
	v_mul_f64_e32 v[10:11], s[26:27], v[10:11]
	v_fmac_f64_e32 v[10:11], s[24:25], v[4:5]
	s_delay_alu instid0(VALU_DEP_1) | instskip(NEXT) | instid1(VALU_DEP_1)
	v_cvt_f32_f64_e32 v1, v[10:11]
	v_and_b32_e32 v2, 0x7f800000, v1
	v_and_b32_e32 v10, 0xffff, v1
	v_lshrrev_b32_e32 v1, 16, v1
	s_delay_alu instid0(VALU_DEP_3) | instskip(NEXT) | instid1(VALU_DEP_3)
	v_cmp_eq_u32_e32 vcc_lo, 0x7f800000, v2
	v_cmp_ne_u32_e64 s0, 0, v10
	s_and_b32 s0, vcc_lo, s0
	s_delay_alu instid0(SALU_CYCLE_1) | instskip(SKIP_1) | instid1(VALU_DEP_1)
	v_cndmask_b32_e64 v2, 0, 1, s0
	s_mov_b32 s0, 0
	v_or_b32_e32 v1, v1, v2
	global_store_b16 v[8:9], v1, off
.LBB84_21:                              ;   in Loop: Header=BB84_3 Depth=1
	s_and_not1_b32 vcc_lo, exec_lo, s0
	s_cbranch_vccnz .LBB84_2
; %bb.22:                               ;   in Loop: Header=BB84_3 Depth=1
	s_wait_xcnt 0x0
	v_cvt_f32_f64_e32 v1, v[4:5]
	s_delay_alu instid0(VALU_DEP_1) | instskip(SKIP_2) | instid1(VALU_DEP_3)
	v_and_b32_e32 v2, 0x7f800000, v1
	v_and_b32_e32 v4, 0xffff, v1
	v_lshrrev_b32_e32 v1, 16, v1
	v_cmp_eq_u32_e32 vcc_lo, 0x7f800000, v2
	s_delay_alu instid0(VALU_DEP_3) | instskip(SKIP_2) | instid1(SALU_CYCLE_1)
	v_cmp_ne_u32_e64 s0, 0, v4
	v_lshl_add_u64 v[4:5], v[6:7], 1, s[22:23]
	s_and_b32 s0, vcc_lo, s0
	v_cndmask_b32_e64 v2, 0, 1, s0
	s_delay_alu instid0(VALU_DEP_1)
	v_or_b32_e32 v1, v1, v2
	global_store_b16 v[4:5], v1, off
	s_branch .LBB84_2
.LBB84_23:
	s_endpgm
	.section	.rodata,"a",@progbits
	.p2align	6, 0x0
	.amdhsa_kernel naive_conv_ab_packed_wrw_ncdhw_ushort_double_ushort
		.amdhsa_group_segment_fixed_size 0
		.amdhsa_private_segment_fixed_size 0
		.amdhsa_kernarg_size 528
		.amdhsa_user_sgpr_count 2
		.amdhsa_user_sgpr_dispatch_ptr 0
		.amdhsa_user_sgpr_queue_ptr 0
		.amdhsa_user_sgpr_kernarg_segment_ptr 1
		.amdhsa_user_sgpr_dispatch_id 0
		.amdhsa_user_sgpr_kernarg_preload_length 0
		.amdhsa_user_sgpr_kernarg_preload_offset 0
		.amdhsa_user_sgpr_private_segment_size 0
		.amdhsa_wavefront_size32 1
		.amdhsa_uses_dynamic_stack 0
		.amdhsa_enable_private_segment 0
		.amdhsa_system_sgpr_workgroup_id_x 1
		.amdhsa_system_sgpr_workgroup_id_y 0
		.amdhsa_system_sgpr_workgroup_id_z 0
		.amdhsa_system_sgpr_workgroup_info 0
		.amdhsa_system_vgpr_workitem_id 0
		.amdhsa_next_free_vgpr 24
		.amdhsa_next_free_sgpr 85
		.amdhsa_named_barrier_count 0
		.amdhsa_reserve_vcc 1
		.amdhsa_float_round_mode_32 0
		.amdhsa_float_round_mode_16_64 0
		.amdhsa_float_denorm_mode_32 3
		.amdhsa_float_denorm_mode_16_64 3
		.amdhsa_fp16_overflow 0
		.amdhsa_memory_ordered 1
		.amdhsa_forward_progress 1
		.amdhsa_inst_pref_size 17
		.amdhsa_round_robin_scheduling 0
		.amdhsa_exception_fp_ieee_invalid_op 0
		.amdhsa_exception_fp_denorm_src 0
		.amdhsa_exception_fp_ieee_div_zero 0
		.amdhsa_exception_fp_ieee_overflow 0
		.amdhsa_exception_fp_ieee_underflow 0
		.amdhsa_exception_fp_ieee_inexact 0
		.amdhsa_exception_int_div_zero 0
	.end_amdhsa_kernel
	.text
.Lfunc_end84:
	.size	naive_conv_ab_packed_wrw_ncdhw_ushort_double_ushort, .Lfunc_end84-naive_conv_ab_packed_wrw_ncdhw_ushort_double_ushort
                                        ; -- End function
	.set naive_conv_ab_packed_wrw_ncdhw_ushort_double_ushort.num_vgpr, 24
	.set naive_conv_ab_packed_wrw_ncdhw_ushort_double_ushort.num_agpr, 0
	.set naive_conv_ab_packed_wrw_ncdhw_ushort_double_ushort.numbered_sgpr, 85
	.set naive_conv_ab_packed_wrw_ncdhw_ushort_double_ushort.num_named_barrier, 0
	.set naive_conv_ab_packed_wrw_ncdhw_ushort_double_ushort.private_seg_size, 0
	.set naive_conv_ab_packed_wrw_ncdhw_ushort_double_ushort.uses_vcc, 1
	.set naive_conv_ab_packed_wrw_ncdhw_ushort_double_ushort.uses_flat_scratch, 0
	.set naive_conv_ab_packed_wrw_ncdhw_ushort_double_ushort.has_dyn_sized_stack, 0
	.set naive_conv_ab_packed_wrw_ncdhw_ushort_double_ushort.has_recursion, 0
	.set naive_conv_ab_packed_wrw_ncdhw_ushort_double_ushort.has_indirect_call, 0
	.section	.AMDGPU.csdata,"",@progbits
; Kernel info:
; codeLenInByte = 2140
; TotalNumSgprs: 87
; NumVgprs: 24
; ScratchSize: 0
; MemoryBound: 0
; FloatMode: 240
; IeeeMode: 1
; LDSByteSize: 0 bytes/workgroup (compile time only)
; SGPRBlocks: 0
; VGPRBlocks: 1
; NumSGPRsForWavesPerEU: 87
; NumVGPRsForWavesPerEU: 24
; NamedBarCnt: 0
; Occupancy: 16
; WaveLimiterHint : 0
; COMPUTE_PGM_RSRC2:SCRATCH_EN: 0
; COMPUTE_PGM_RSRC2:USER_SGPR: 2
; COMPUTE_PGM_RSRC2:TRAP_HANDLER: 0
; COMPUTE_PGM_RSRC2:TGID_X_EN: 1
; COMPUTE_PGM_RSRC2:TGID_Y_EN: 0
; COMPUTE_PGM_RSRC2:TGID_Z_EN: 0
; COMPUTE_PGM_RSRC2:TIDIG_COMP_CNT: 0
	.text
	.protected	naive_conv_ab_nonpacked_wrw_ncdhw_ushort_double_ushort ; -- Begin function naive_conv_ab_nonpacked_wrw_ncdhw_ushort_double_ushort
	.globl	naive_conv_ab_nonpacked_wrw_ncdhw_ushort_double_ushort
	.p2align	8
	.type	naive_conv_ab_nonpacked_wrw_ncdhw_ushort_double_ushort,@function
naive_conv_ab_nonpacked_wrw_ncdhw_ushort_double_ushort: ; @naive_conv_ab_nonpacked_wrw_ncdhw_ushort_double_ushort
; %bb.0:
	s_clause 0x2
	s_load_b512 s[4:19], s[0:1], 0xb8
	s_load_b32 s33, s[0:1], 0x108
	s_load_b128 s[28:31], s[0:1], 0xf8
	s_bfe_u32 s2, ttmp6, 0x4000c
	s_and_b32 s3, ttmp6, 15
	s_add_co_i32 s2, s2, 1
	s_getreg_b32 s20, hwreg(HW_REG_IB_STS2, 6, 4)
	s_mul_i32 s2, ttmp9, s2
	s_delay_alu instid0(SALU_CYCLE_1)
	s_add_co_i32 s3, s3, s2
	s_cmp_eq_u32 s20, 0
	s_cselect_b32 s34, ttmp9, s3
	s_mov_b32 s3, 0
	s_wait_kmcnt 0x0
	s_abs_i32 s20, s8
	s_delay_alu instid0(SALU_CYCLE_1) | instskip(SKIP_1) | instid1(SALU_CYCLE_1)
	s_cvt_f32_u32 s2, s20
	s_mul_i32 s73, s33, s31
	s_mul_i32 s72, s73, s30
	s_delay_alu instid0(SALU_CYCLE_1) | instskip(SKIP_3) | instid1(TRANS32_DEP_1)
	v_rcp_iflag_f32_e32 v1, s2
	s_mul_i32 s76, s72, s9
	s_mov_b32 s9, exec_lo
	v_nop
	v_readfirstlane_b32 s2, v1
	v_cmpx_gt_i32_e64 s76, v0
	s_cbranch_execz .LBB85_23
; %bb.1:
	s_mul_f32 s2, s2, 0x4f7ffffe
	s_sub_co_i32 s22, 0, s20
	s_mov_b32 s23, s3
	s_ashr_i32 s9, s34, 31
	s_cvt_u32_f32 s21, s2
	s_abs_i32 s2, s34
	s_ashr_i32 s24, s8, 31
	s_load_b512 s[36:51], s[0:1], 0x28
	s_mul_i32 s22, s22, s21
	s_load_b512 s[52:67], s[0:1], 0x68
	s_mul_hi_u32 s22, s21, s22
	s_load_b128 s[68:71], s[0:1], 0xa8
	s_add_co_i32 s22, s21, s22
	s_xor_b32 s9, s9, s24
	s_mul_u64 s[22:23], s[2:3], s[22:23]
	v_mov_b32_e32 v3, 0
	s_mul_i32 s21, s23, s20
	s_mov_b32 s91, 0
	s_sub_co_i32 s2, s2, s21
	s_add_co_i32 s21, s23, 1
	s_sub_co_i32 s22, s2, s20
	s_cmp_ge_u32 s2, s20
	s_cselect_b32 s21, s21, s23
	s_cselect_b32 s2, s22, s2
	s_add_co_i32 s22, s21, 1
	s_cmp_ge_u32 s2, s20
	s_cselect_b32 s2, s22, s21
	s_load_b256 s[20:27], s[0:1], 0x0
	s_xor_b32 s2, s2, s9
	s_delay_alu instid0(SALU_CYCLE_1)
	s_sub_co_i32 s74, s2, s9
	s_load_b32 s2, s[0:1], 0x11c
	s_mul_i32 s8, s74, s8
	s_ashr_i32 s75, s74, 31
	s_sub_co_i32 s8, s34, s8
	s_wait_kmcnt 0x0
	s_mul_u64 s[34:35], s[44:45], s[74:75]
	s_ashr_i32 s9, s8, 31
	s_mul_u64 s[44:45], s[58:59], s[74:75]
	s_mul_u64 s[58:59], s[68:69], s[74:75]
	;; [unrolled: 1-line block ×4, first 2 shown]
	s_lshl_b64 s[34:35], s[34:35], 1
	s_lshl_b64 s[44:45], s[44:45], 1
	;; [unrolled: 1-line block ×5, first 2 shown]
	s_cmp_lt_i32 s7, 1
	s_load_b64 s[0:1], s[0:1], 0x20
	s_cselect_b32 s77, -1, 0
	s_cmp_gt_i32 s10, 0
	v_cmp_neq_f64_e64 s68, s[24:25], 1.0
	s_cselect_b32 s78, -1, 0
	s_cmp_gt_i32 s11, 0
	v_cmp_neq_f64_e64 s69, s[26:27], 0
	s_cselect_b32 s79, -1, 0
	s_cmp_gt_i32 s12, 0
	s_cselect_b32 s80, -1, 0
	s_abs_i32 s81, s33
	s_abs_i32 s82, s31
	s_cvt_f32_u32 s8, s81
	s_cvt_f32_u32 s31, s82
	s_abs_i32 s85, s73
	s_and_b32 s83, s2, 0xffff
	v_rcp_iflag_f32_e32 v1, s8
	v_rcp_iflag_f32_e32 v2, s31
	s_cvt_f32_u32 s2, s85
	s_wait_kmcnt 0x0
	s_add_nc_u64 s[0:1], s[0:1], s[58:59]
	s_add_nc_u64 s[8:9], s[20:21], s[34:35]
	;; [unrolled: 1-line block ×4, first 2 shown]
	v_nop
	v_readfirstlane_b32 s31, v1
	v_rcp_iflag_f32_e32 v1, s2
	v_readfirstlane_b32 s0, v2
	s_abs_i32 s87, s30
	s_abs_i32 s88, s72
	s_mul_f32 s1, s31, 0x4f7ffffe
	s_cvt_f32_u32 s34, s87
	s_mul_f32 s0, s0, 0x4f7ffffe
	s_sub_co_i32 s31, 0, s81
	s_cvt_u32_f32 s1, s1
	v_readfirstlane_b32 s35, v1
	v_rcp_iflag_f32_e32 v1, s34
	s_cvt_f32_u32 s34, s88
	s_mul_i32 s31, s31, s1
	s_cvt_u32_f32 s0, s0
	s_mul_hi_u32 s2, s1, s31
	s_sub_co_i32 s31, 0, s82
	s_add_co_i32 s30, s1, s2
	s_mul_f32 s2, s35, 0x4f7ffffe
	v_rcp_iflag_f32_e32 v2, s34
	s_mul_i32 s1, s31, s0
	v_readfirstlane_b32 s44, v1
	s_mul_hi_u32 s1, s0, s1
	s_cvt_u32_f32 s2, s2
	s_add_co_i32 s34, s0, s1
	s_sub_co_i32 s0, 0, s85
	v_readfirstlane_b32 s45, v2
	s_mul_i32 s0, s0, s2
	s_mul_f32 s1, s44, 0x4f7ffffe
	s_mul_hi_u32 s0, s2, s0
	s_add_nc_u64 s[20:21], s[20:21], s[56:57]
	s_add_co_i32 s44, s2, s0
	s_cvt_u32_f32 s0, s1
	s_mul_f32 s1, s45, 0x4f7ffffe
	s_sub_co_i32 s2, 0, s87
	s_sub_co_i32 s57, 0, s88
	s_mul_i32 s2, s2, s0
	s_cvt_u32_f32 s1, s1
	s_mul_hi_u32 s2, s0, s2
	s_ashr_i32 s84, s33, 31
	s_add_co_i32 s56, s0, s2
	s_mul_i32 s0, s57, s1
	s_or_b32 s86, s68, s69
	s_mul_hi_u32 s0, s1, s0
	s_mov_b32 s31, s3
	s_mov_b32 s35, s3
	s_ashr_i32 s89, s73, 31
	s_mov_b32 s45, s3
	s_mov_b32 s57, s3
	s_ashr_i32 s90, s72, 31
	s_add_co_i32 s58, s1, s0
	s_mov_b32 s59, s3
	s_lshl_b64 s[66:67], s[70:71], 1
	s_lshl_b64 s[64:65], s[64:65], 1
	;; [unrolled: 1-line block ×4, first 2 shown]
	s_sub_co_i32 s29, 0, s29
	s_branch .LBB85_3
.LBB85_2:                               ;   in Loop: Header=BB85_3 Depth=1
	v_add_nc_u32_e32 v0, s83, v0
	s_delay_alu instid0(VALU_DEP_1)
	v_cmp_le_i32_e32 vcc_lo, s76, v0
	s_or_b32 s91, vcc_lo, s91
	s_wait_xcnt 0x0
	s_and_not1_b32 exec_lo, exec_lo, s91
	s_cbranch_execz .LBB85_23
.LBB85_3:                               ; =>This Loop Header: Depth=1
                                        ;     Child Loop BB85_8 Depth 2
                                        ;       Child Loop BB85_11 Depth 3
                                        ;         Child Loop BB85_14 Depth 4
                                        ;           Child Loop BB85_17 Depth 5
	v_sub_nc_u32_e32 v1, 0, v0
	s_mov_b32 s2, -1
	s_delay_alu instid0(VALU_DEP_1) | instskip(NEXT) | instid1(VALU_DEP_1)
	v_dual_ashrrev_i32 v16, 31, v0 :: v_dual_max_i32 v2, v0, v1
	v_mul_u64_e32 v[4:5], s[30:31], v[2:3]
	v_mul_u64_e32 v[6:7], s[44:45], v[2:3]
	s_delay_alu instid0(VALU_DEP_2) | instskip(NEXT) | instid1(VALU_DEP_2)
	v_mul_lo_u32 v1, v5, s81
	v_mul_lo_u32 v4, v7, s85
	v_add_nc_u32_e32 v6, 1, v5
	s_delay_alu instid0(VALU_DEP_2) | instskip(NEXT) | instid1(VALU_DEP_1)
	v_dual_sub_nc_u32 v1, v2, v1 :: v_dual_sub_nc_u32 v4, v2, v4
	v_cmp_le_u32_e32 vcc_lo, s81, v1
	v_add_nc_u32_e32 v8, 1, v7
	s_delay_alu instid0(VALU_DEP_3) | instskip(SKIP_3) | instid1(VALU_DEP_4)
	v_cmp_le_u32_e64 s0, s85, v4
	v_subrev_nc_u32_e32 v9, s85, v4
	v_cndmask_b32_e32 v5, v5, v6, vcc_lo
	v_subrev_nc_u32_e32 v6, s81, v1
	v_cndmask_b32_e64 v7, v7, v8, s0
	s_delay_alu instid0(VALU_DEP_2) | instskip(NEXT) | instid1(VALU_DEP_4)
	v_dual_cndmask_b32 v1, v1, v6, vcc_lo :: v_dual_bitop2_b32 v8, s84, v16 bitop3:0x14
	v_add_nc_u32_e32 v6, 1, v5
	s_delay_alu instid0(VALU_DEP_3) | instskip(NEXT) | instid1(VALU_DEP_3)
	v_dual_cndmask_b32 v4, v4, v9, s0 :: v_dual_add_nc_u32 v9, 1, v7
	v_cmp_le_u32_e32 vcc_lo, s81, v1
	s_delay_alu instid0(VALU_DEP_3) | instskip(NEXT) | instid1(VALU_DEP_3)
	v_dual_cndmask_b32 v1, v5, v6, vcc_lo :: v_dual_bitop2_b32 v10, s89, v16 bitop3:0x14
	v_cmp_le_u32_e32 vcc_lo, s85, v4
	s_delay_alu instid0(VALU_DEP_2) | instskip(NEXT) | instid1(VALU_DEP_1)
	v_dual_cndmask_b32 v4, v7, v9, vcc_lo :: v_dual_bitop2_b32 v1, v1, v8 bitop3:0x14
	v_dual_mov_b32 v9, v3 :: v_dual_sub_nc_u32 v1, v1, v8
	s_delay_alu instid0(VALU_DEP_2) | instskip(NEXT) | instid1(VALU_DEP_1)
	v_xor_b32_e32 v4, v4, v10
	v_sub_nc_u32_e32 v6, v4, v10
	v_mul_u64_e32 v[4:5], s[58:59], v[2:3]
	s_delay_alu instid0(VALU_DEP_4) | instskip(NEXT) | instid1(VALU_DEP_1)
	v_dual_mov_b32 v11, v3 :: v_dual_sub_nc_u32 v4, 0, v1
	v_dual_sub_nc_u32 v7, 0, v6 :: v_dual_max_i32 v8, v1, v4
	s_delay_alu instid0(VALU_DEP_1) | instskip(NEXT) | instid1(VALU_DEP_2)
	v_max_i32_e32 v10, v6, v7
	v_mul_u64_e32 v[12:13], s[34:35], v[8:9]
	v_mul_lo_u32 v4, v5, s88
	s_delay_alu instid0(VALU_DEP_1) | instskip(NEXT) | instid1(VALU_DEP_4)
	v_dual_sub_nc_u32 v2, v2, v4 :: v_dual_add_nc_u32 v4, 1, v5
	v_mul_u64_e32 v[14:15], s[56:57], v[10:11]
	s_delay_alu instid0(VALU_DEP_4) | instskip(NEXT) | instid1(VALU_DEP_3)
	v_mul_lo_u32 v7, v13, s82
	v_cmp_le_u32_e32 vcc_lo, s88, v2
	s_delay_alu instid0(VALU_DEP_4) | instskip(SKIP_1) | instid1(VALU_DEP_1)
	v_cndmask_b32_e32 v4, v5, v4, vcc_lo
	v_subrev_nc_u32_e32 v11, s88, v2
	v_cndmask_b32_e32 v2, v2, v11, vcc_lo
	v_mul_lo_u32 v9, v15, s87
	s_delay_alu instid0(VALU_DEP_4) | instskip(NEXT) | instid1(VALU_DEP_3)
	v_dual_sub_nc_u32 v5, v8, v7 :: v_dual_add_nc_u32 v8, 1, v4
	v_cmp_le_u32_e32 vcc_lo, s88, v2
	s_delay_alu instid0(VALU_DEP_3) | instskip(NEXT) | instid1(VALU_DEP_3)
	v_sub_nc_u32_e32 v7, v10, v9
	v_subrev_nc_u32_e32 v10, s82, v5
	s_delay_alu instid0(VALU_DEP_2) | instskip(SKIP_2) | instid1(VALU_DEP_4)
	v_subrev_nc_u32_e32 v11, s87, v7
	v_cndmask_b32_e32 v4, v4, v8, vcc_lo
	v_cmp_le_u32_e32 vcc_lo, s82, v5
	v_dual_cndmask_b32 v2, v5, v10, vcc_lo :: v_dual_bitop2_b32 v9, s90, v16 bitop3:0x14
	v_cmp_le_u32_e32 vcc_lo, s87, v7
	s_delay_alu instid0(VALU_DEP_2) | instskip(NEXT) | instid1(VALU_DEP_3)
	v_cmp_le_u32_e64 s0, s82, v2
	v_dual_cndmask_b32 v7, v7, v11, vcc_lo :: v_dual_bitop2_b32 v4, v4, v9 bitop3:0x14
	s_and_not1_b32 vcc_lo, exec_lo, s77
	s_delay_alu instid0(VALU_DEP_1) | instskip(NEXT) | instid1(VALU_DEP_2)
	v_cmp_le_u32_e64 s1, s87, v7
	v_sub_nc_u32_e32 v4, v4, v9
	s_cbranch_vccnz .LBB85_5
; %bb.4:                                ;   in Loop: Header=BB85_3 Depth=1
	s_delay_alu instid0(VALU_DEP_1)
	v_ashrrev_i32_e32 v5, 31, v4
	s_mov_b32 s2, 0
.LBB85_5:                               ;   in Loop: Header=BB85_3 Depth=1
	v_subrev_nc_u32_e32 v8, s82, v2
	v_subrev_nc_u32_e32 v9, s87, v7
	v_mul_lo_u32 v10, v1, s33
	v_dual_ashrrev_i32 v1, 31, v1 :: v_dual_ashrrev_i32 v11, 31, v6
	s_delay_alu instid0(VALU_DEP_3) | instskip(SKIP_1) | instid1(VALU_DEP_1)
	v_dual_cndmask_b32 v2, v2, v8, s0 :: v_dual_cndmask_b32 v6, v7, v9, s1
	s_and_not1_b32 vcc_lo, exec_lo, s2
	v_xor_b32_e32 v2, v2, v1
	s_delay_alu instid0(VALU_DEP_2) | instskip(SKIP_1) | instid1(VALU_DEP_3)
	v_xor_b32_e32 v9, v6, v11
	v_mov_b64_e32 v[6:7], 0
	v_dual_sub_nc_u32 v8, v0, v10 :: v_dual_sub_nc_u32 v18, v2, v1
	s_delay_alu instid0(VALU_DEP_3)
	v_sub_nc_u32_e32 v1, v9, v11
	s_cbranch_vccnz .LBB85_19
; %bb.6:                                ;   in Loop: Header=BB85_3 Depth=1
	v_ashrrev_i32_e32 v5, 31, v4
	s_delay_alu instid0(VALU_DEP_2)
	v_mul_lo_u32 v9, v1, s16
	v_mul_lo_u32 v19, v18, s17
	v_mad_u32 v20, v8, s18, s29
	v_mov_b64_e32 v[6:7], 0
	v_mul_u64_e32 v[10:11], s[42:43], v[4:5]
	s_mov_b32 s2, 0
	s_mov_b64 s[68:69], s[22:23]
	s_delay_alu instid0(VALU_DEP_1)
	v_lshl_add_u64 v[10:11], v[10:11], 1, s[8:9]
	s_branch .LBB85_8
.LBB85_7:                               ;   in Loop: Header=BB85_8 Depth=2
	s_add_co_i32 s2, s2, 1
	s_add_nc_u64 s[68:69], s[68:69], s[66:67]
	s_cmp_eq_u32 s2, s7
	s_cbranch_scc1 .LBB85_19
.LBB85_8:                               ;   Parent Loop BB85_3 Depth=1
                                        ; =>  This Loop Header: Depth=2
                                        ;       Child Loop BB85_11 Depth 3
                                        ;         Child Loop BB85_14 Depth 4
                                        ;           Child Loop BB85_17 Depth 5
	s_and_not1_b32 vcc_lo, exec_lo, s78
	s_cbranch_vccnz .LBB85_7
; %bb.9:                                ;   in Loop: Header=BB85_8 Depth=2
	s_mul_u64 s[0:1], s[46:47], s[2:3]
	s_mov_b64 s[70:71], s[68:69]
	v_lshl_add_u64 v[12:13], s[0:1], 1, v[10:11]
	s_mov_b32 s1, 0
	s_branch .LBB85_11
.LBB85_10:                              ;   in Loop: Header=BB85_11 Depth=3
	s_add_co_i32 s1, s1, 1
	s_add_nc_u64 s[70:71], s[70:71], s[64:65]
	s_cmp_eq_u32 s1, s10
	s_cbranch_scc1 .LBB85_7
.LBB85_11:                              ;   Parent Loop BB85_3 Depth=1
                                        ;     Parent Loop BB85_8 Depth=2
                                        ; =>    This Loop Header: Depth=3
                                        ;         Child Loop BB85_14 Depth 4
                                        ;           Child Loop BB85_17 Depth 5
	s_and_not1_b32 vcc_lo, exec_lo, s79
	s_cbranch_vccnz .LBB85_10
; %bb.12:                               ;   in Loop: Header=BB85_11 Depth=3
	s_mul_i32 s0, s1, s13
	s_mov_b32 s92, 0
	s_sub_co_i32 s0, s0, s19
	s_mov_b64 s[72:73], s[70:71]
	v_add_nc_u32_e32 v2, s0, v9
	s_delay_alu instid0(VALU_DEP_1)
	v_mul_u64_e32 v[14:15], s[40:41], v[2:3]
	v_cmp_gt_i32_e32 vcc_lo, 0, v2
	v_cmp_le_i32_e64 s0, s4, v2
	s_or_b32 s93, vcc_lo, s0
	v_lshl_add_u64 v[14:15], v[14:15], 1, v[12:13]
	s_branch .LBB85_14
.LBB85_13:                              ;   in Loop: Header=BB85_14 Depth=4
	s_add_co_i32 s92, s92, 1
	s_add_nc_u64 s[72:73], s[72:73], s[62:63]
	s_cmp_eq_u32 s92, s11
	s_cbranch_scc1 .LBB85_10
.LBB85_14:                              ;   Parent Loop BB85_3 Depth=1
                                        ;     Parent Loop BB85_8 Depth=2
                                        ;       Parent Loop BB85_11 Depth=3
                                        ; =>      This Loop Header: Depth=4
                                        ;           Child Loop BB85_17 Depth 5
	s_and_not1_b32 vcc_lo, exec_lo, s80
	s_cbranch_vccnz .LBB85_13
; %bb.15:                               ;   in Loop: Header=BB85_14 Depth=4
	s_mul_i32 s0, s92, s14
	s_mov_b64 s[74:75], s[72:73]
	s_sub_co_i32 s0, s0, s28
	s_mov_b32 s95, s12
	v_add_nc_u32_e32 v2, s0, v19
	s_delay_alu instid0(VALU_DEP_1) | instskip(SKIP_4) | instid1(SALU_CYCLE_1)
	v_mul_u64_e32 v[16:17], s[38:39], v[2:3]
	v_cmp_gt_i32_e32 vcc_lo, 0, v2
	v_cmp_le_i32_e64 s0, s5, v2
	v_mov_b32_e32 v2, v20
	s_or_b32 s0, vcc_lo, s0
	s_or_b32 s94, s93, s0
	v_lshl_add_u64 v[16:17], v[16:17], 1, v[14:15]
	s_branch .LBB85_17
.LBB85_16:                              ;   in Loop: Header=BB85_17 Depth=5
	s_or_b32 exec_lo, exec_lo, s0
	v_add_nc_u32_e32 v2, s15, v2
	s_add_co_i32 s95, s95, -1
	s_add_nc_u64 s[74:75], s[74:75], s[60:61]
	s_cmp_eq_u32 s95, 0
	s_cbranch_scc1 .LBB85_13
.LBB85_17:                              ;   Parent Loop BB85_3 Depth=1
                                        ;     Parent Loop BB85_8 Depth=2
                                        ;       Parent Loop BB85_11 Depth=3
                                        ;         Parent Loop BB85_14 Depth=4
                                        ; =>        This Inner Loop Header: Depth=5
	v_cmp_gt_i32_e32 vcc_lo, 0, v2
	v_cmp_le_i32_e64 s0, s6, v2
	s_or_b32 s0, vcc_lo, s0
	s_delay_alu instid0(SALU_CYCLE_1) | instskip(NEXT) | instid1(SALU_CYCLE_1)
	s_nor_b32 s96, s94, s0
	s_and_saveexec_b32 s0, s96
	s_cbranch_execz .LBB85_16
; %bb.18:                               ;   in Loop: Header=BB85_17 Depth=5
	v_mul_u64_e32 v[22:23], s[36:37], v[2:3]
	s_load_u16 s96, s[74:75], 0x0
	s_wait_kmcnt 0x0
	s_lshl_b32 s96, s96, 16
	s_delay_alu instid0(VALU_DEP_1)
	v_lshl_add_u64 v[22:23], v[22:23], 1, v[16:17]
	global_load_u16 v21, v[22:23], off
	s_wait_xcnt 0x0
	v_cvt_f64_f32_e32 v[22:23], s96
	s_wait_loadcnt 0x0
	v_lshlrev_b32_e32 v21, 16, v21
	s_delay_alu instid0(VALU_DEP_1) | instskip(NEXT) | instid1(VALU_DEP_1)
	v_cvt_f64_f32_e32 v[24:25], v21
	v_fmac_f64_e32 v[6:7], v[24:25], v[22:23]
	s_branch .LBB85_16
.LBB85_19:                              ;   in Loop: Header=BB85_3 Depth=1
	s_delay_alu instid0(VALU_DEP_2) | instskip(SKIP_2) | instid1(VALU_DEP_1)
	v_ashrrev_i32_e32 v9, 31, v8
	s_and_b32 vcc_lo, exec_lo, s86
	s_mov_b32 s0, -1
	v_mul_u64_e32 v[8:9], s[48:49], v[8:9]
	s_delay_alu instid0(VALU_DEP_1) | instskip(NEXT) | instid1(VALU_DEP_1)
	v_mad_nc_u64_u32 v[8:9], s50, v18, v[8:9]
	v_mad_u32 v2, s51, v18, v9
	v_ashrrev_i32_e32 v9, 31, v18
	s_delay_alu instid0(VALU_DEP_1) | instskip(NEXT) | instid1(VALU_DEP_1)
	v_mad_u32 v9, s50, v9, v2
	v_mad_nc_u64_u32 v[8:9], s52, v1, v[8:9]
	s_delay_alu instid0(VALU_DEP_1) | instskip(SKIP_1) | instid1(VALU_DEP_1)
	v_mad_u32 v2, s53, v1, v9
	v_ashrrev_i32_e32 v1, 31, v1
	v_mad_u32 v9, s52, v1, v2
	s_delay_alu instid0(VALU_DEP_1) | instskip(NEXT) | instid1(VALU_DEP_1)
	v_mad_nc_u64_u32 v[8:9], v4, s54, v[8:9]
	v_mad_u32 v1, v5, s54, v9
	s_delay_alu instid0(VALU_DEP_1)
	v_mad_u32 v9, v4, s55, v1
	s_cbranch_vccz .LBB85_21
; %bb.20:                               ;   in Loop: Header=BB85_3 Depth=1
	s_delay_alu instid0(VALU_DEP_1) | instskip(SKIP_3) | instid1(VALU_DEP_1)
	v_lshl_add_u64 v[4:5], v[8:9], 1, s[20:21]
	global_load_u16 v1, v[4:5], off
	s_wait_loadcnt 0x0
	v_lshlrev_b32_e32 v1, 16, v1
	v_cvt_f64_f32_e32 v[10:11], v1
	s_delay_alu instid0(VALU_DEP_1) | instskip(NEXT) | instid1(VALU_DEP_1)
	v_mul_f64_e32 v[10:11], s[26:27], v[10:11]
	v_fmac_f64_e32 v[10:11], s[24:25], v[6:7]
	s_delay_alu instid0(VALU_DEP_1) | instskip(NEXT) | instid1(VALU_DEP_1)
	v_cvt_f32_f64_e32 v1, v[10:11]
	v_and_b32_e32 v2, 0x7f800000, v1
	v_and_b32_e32 v10, 0xffff, v1
	v_lshrrev_b32_e32 v1, 16, v1
	s_delay_alu instid0(VALU_DEP_3) | instskip(NEXT) | instid1(VALU_DEP_3)
	v_cmp_eq_u32_e32 vcc_lo, 0x7f800000, v2
	v_cmp_ne_u32_e64 s0, 0, v10
	s_and_b32 s0, vcc_lo, s0
	s_delay_alu instid0(SALU_CYCLE_1) | instskip(SKIP_1) | instid1(VALU_DEP_1)
	v_cndmask_b32_e64 v2, 0, 1, s0
	s_mov_b32 s0, 0
	v_or_b32_e32 v1, v1, v2
	global_store_b16 v[4:5], v1, off
.LBB85_21:                              ;   in Loop: Header=BB85_3 Depth=1
	s_and_not1_b32 vcc_lo, exec_lo, s0
	s_cbranch_vccnz .LBB85_2
; %bb.22:                               ;   in Loop: Header=BB85_3 Depth=1
	s_wait_xcnt 0x0
	v_cvt_f32_f64_e32 v1, v[6:7]
	s_delay_alu instid0(VALU_DEP_1) | instskip(SKIP_2) | instid1(VALU_DEP_3)
	v_and_b32_e32 v2, 0x7f800000, v1
	v_and_b32_e32 v4, 0xffff, v1
	v_lshrrev_b32_e32 v1, 16, v1
	v_cmp_eq_u32_e32 vcc_lo, 0x7f800000, v2
	s_delay_alu instid0(VALU_DEP_3) | instskip(SKIP_2) | instid1(SALU_CYCLE_1)
	v_cmp_ne_u32_e64 s0, 0, v4
	v_lshl_add_u64 v[4:5], v[8:9], 1, s[20:21]
	s_and_b32 s0, vcc_lo, s0
	v_cndmask_b32_e64 v2, 0, 1, s0
	s_delay_alu instid0(VALU_DEP_1)
	v_or_b32_e32 v1, v1, v2
	global_store_b16 v[4:5], v1, off
	s_branch .LBB85_2
.LBB85_23:
	s_endpgm
	.section	.rodata,"a",@progbits
	.p2align	6, 0x0
	.amdhsa_kernel naive_conv_ab_nonpacked_wrw_ncdhw_ushort_double_ushort
		.amdhsa_group_segment_fixed_size 0
		.amdhsa_private_segment_fixed_size 0
		.amdhsa_kernarg_size 528
		.amdhsa_user_sgpr_count 2
		.amdhsa_user_sgpr_dispatch_ptr 0
		.amdhsa_user_sgpr_queue_ptr 0
		.amdhsa_user_sgpr_kernarg_segment_ptr 1
		.amdhsa_user_sgpr_dispatch_id 0
		.amdhsa_user_sgpr_kernarg_preload_length 0
		.amdhsa_user_sgpr_kernarg_preload_offset 0
		.amdhsa_user_sgpr_private_segment_size 0
		.amdhsa_wavefront_size32 1
		.amdhsa_uses_dynamic_stack 0
		.amdhsa_enable_private_segment 0
		.amdhsa_system_sgpr_workgroup_id_x 1
		.amdhsa_system_sgpr_workgroup_id_y 0
		.amdhsa_system_sgpr_workgroup_id_z 0
		.amdhsa_system_sgpr_workgroup_info 0
		.amdhsa_system_vgpr_workitem_id 0
		.amdhsa_next_free_vgpr 26
		.amdhsa_next_free_sgpr 97
		.amdhsa_named_barrier_count 0
		.amdhsa_reserve_vcc 1
		.amdhsa_float_round_mode_32 0
		.amdhsa_float_round_mode_16_64 0
		.amdhsa_float_denorm_mode_32 3
		.amdhsa_float_denorm_mode_16_64 3
		.amdhsa_fp16_overflow 0
		.amdhsa_memory_ordered 1
		.amdhsa_forward_progress 1
		.amdhsa_inst_pref_size 17
		.amdhsa_round_robin_scheduling 0
		.amdhsa_exception_fp_ieee_invalid_op 0
		.amdhsa_exception_fp_denorm_src 0
		.amdhsa_exception_fp_ieee_div_zero 0
		.amdhsa_exception_fp_ieee_overflow 0
		.amdhsa_exception_fp_ieee_underflow 0
		.amdhsa_exception_fp_ieee_inexact 0
		.amdhsa_exception_int_div_zero 0
	.end_amdhsa_kernel
	.text
.Lfunc_end85:
	.size	naive_conv_ab_nonpacked_wrw_ncdhw_ushort_double_ushort, .Lfunc_end85-naive_conv_ab_nonpacked_wrw_ncdhw_ushort_double_ushort
                                        ; -- End function
	.set naive_conv_ab_nonpacked_wrw_ncdhw_ushort_double_ushort.num_vgpr, 26
	.set naive_conv_ab_nonpacked_wrw_ncdhw_ushort_double_ushort.num_agpr, 0
	.set naive_conv_ab_nonpacked_wrw_ncdhw_ushort_double_ushort.numbered_sgpr, 97
	.set naive_conv_ab_nonpacked_wrw_ncdhw_ushort_double_ushort.num_named_barrier, 0
	.set naive_conv_ab_nonpacked_wrw_ncdhw_ushort_double_ushort.private_seg_size, 0
	.set naive_conv_ab_nonpacked_wrw_ncdhw_ushort_double_ushort.uses_vcc, 1
	.set naive_conv_ab_nonpacked_wrw_ncdhw_ushort_double_ushort.uses_flat_scratch, 0
	.set naive_conv_ab_nonpacked_wrw_ncdhw_ushort_double_ushort.has_dyn_sized_stack, 0
	.set naive_conv_ab_nonpacked_wrw_ncdhw_ushort_double_ushort.has_recursion, 0
	.set naive_conv_ab_nonpacked_wrw_ncdhw_ushort_double_ushort.has_indirect_call, 0
	.section	.AMDGPU.csdata,"",@progbits
; Kernel info:
; codeLenInByte = 2052
; TotalNumSgprs: 99
; NumVgprs: 26
; ScratchSize: 0
; MemoryBound: 0
; FloatMode: 240
; IeeeMode: 1
; LDSByteSize: 0 bytes/workgroup (compile time only)
; SGPRBlocks: 0
; VGPRBlocks: 1
; NumSGPRsForWavesPerEU: 99
; NumVGPRsForWavesPerEU: 26
; NamedBarCnt: 0
; Occupancy: 16
; WaveLimiterHint : 0
; COMPUTE_PGM_RSRC2:SCRATCH_EN: 0
; COMPUTE_PGM_RSRC2:USER_SGPR: 2
; COMPUTE_PGM_RSRC2:TRAP_HANDLER: 0
; COMPUTE_PGM_RSRC2:TGID_X_EN: 1
; COMPUTE_PGM_RSRC2:TGID_Y_EN: 0
; COMPUTE_PGM_RSRC2:TGID_Z_EN: 0
; COMPUTE_PGM_RSRC2:TIDIG_COMP_CNT: 0
	.text
	.protected	naive_conv_ab_packed_wrw_ndhwc_float_double_float ; -- Begin function naive_conv_ab_packed_wrw_ndhwc_float_double_float
	.globl	naive_conv_ab_packed_wrw_ndhwc_float_double_float
	.p2align	8
	.type	naive_conv_ab_packed_wrw_ndhwc_float_double_float,@function
naive_conv_ab_packed_wrw_ndhwc_float_double_float: ; @naive_conv_ab_packed_wrw_ndhwc_float_double_float
; %bb.0:
	s_clause 0x2
	s_load_b512 s[4:19], s[0:1], 0xb8
	s_load_b64 s[2:3], s[0:1], 0x108
	s_load_b128 s[28:31], s[0:1], 0xf8
	s_bfe_u32 s20, ttmp6, 0x4000c
	s_and_b32 s21, ttmp6, 15
	s_add_co_i32 s20, s20, 1
	s_getreg_b32 s22, hwreg(HW_REG_IB_STS2, 6, 4)
	s_mul_i32 s20, ttmp9, s20
	s_mov_b32 s35, 0
	s_add_co_i32 s21, s21, s20
	s_cmp_eq_u32 s22, 0
	s_cselect_b32 s38, ttmp9, s21
	s_mov_b32 s21, exec_lo
	s_wait_kmcnt 0x0
	s_abs_i32 s37, s8
	s_mul_i32 s52, s2, s9
	s_cvt_f32_u32 s20, s37
	s_mul_i32 s56, s52, s31
	s_delay_alu instid0(SALU_CYCLE_1) | instskip(NEXT) | instid1(SALU_CYCLE_1)
	s_mul_i32 s33, s56, s30
	v_rcp_iflag_f32_e32 v1, s20
	v_nop
	s_delay_alu instid0(TRANS32_DEP_1)
	v_readfirstlane_b32 s20, v1
	v_cmpx_gt_i32_e64 s33, v0
	s_cbranch_execz .LBB86_21
; %bb.1:
	s_mul_f32 s34, s20, 0x4f7ffffe
	s_mov_b32 s41, s35
	s_ashr_i32 s39, s38, 31
	s_ashr_i32 s45, s8, 31
	s_cvt_u32_f32 s36, s34
	s_sub_co_i32 s34, 0, s37
	s_xor_b32 s39, s39, s45
	s_load_b256 s[20:27], s[0:1], 0x0
	s_mul_i32 s40, s34, s36
	s_abs_i32 s34, s38
	s_mul_hi_u32 s40, s36, s40
	s_load_b64 s[42:43], s[0:1], 0x20
	s_add_co_i32 s40, s36, s40
	s_mov_b32 s36, s9
	s_mul_u64 s[40:41], s[34:35], s[40:41]
	s_mov_b32 s44, s8
	s_mul_i32 s40, s41, s37
	s_mov_b32 s60, s12
	s_sub_co_i32 s34, s34, s40
	s_add_co_i32 s40, s41, 1
	s_sub_co_i32 s46, s34, s37
	s_cmp_ge_u32 s34, s37
	s_mov_b32 s58, s10
	s_cselect_b32 s40, s40, s41
	s_cselect_b32 s34, s46, s34
	s_add_co_i32 s41, s40, 1
	s_cmp_ge_u32 s34, s37
	s_mov_b32 s46, s30
	s_cselect_b32 s34, s41, s40
	s_ashr_i32 s37, s9, 31
	s_xor_b32 s34, s34, s39
	s_ashr_i32 s47, s30, 31
	s_sub_co_i32 s40, s34, s39
	s_ashr_i32 s39, s31, 31
	s_mul_i32 s30, s40, s8
	s_ashr_i32 s41, s40, 31
	s_sub_co_i32 s48, s38, s30
	s_mov_b32 s38, s31
	s_mul_u64 s[46:47], s[46:47], s[36:37]
	s_mul_u64 s[50:51], s[40:41], s[36:37]
	;; [unrolled: 1-line block ×3, first 2 shown]
	s_ashr_i32 s41, s2, 31
	s_mov_b32 s40, s2
	s_ashr_i32 s49, s48, 31
	s_mul_u64 s[46:47], s[46:47], s[38:39]
	s_add_nc_u64 s[54:55], s[44:45], s[48:49]
	s_mul_u64 s[46:47], s[46:47], s[40:41]
	s_wait_kmcnt 0x0
	v_cmp_neq_f64_e64 s30, s[24:25], 1.0
	s_mul_u64 s[46:47], s[46:47], s[54:55]
	v_cmp_neq_f64_e64 s34, s[26:27], 0
	s_lshl_b64 s[50:51], s[50:51], 2
	s_lshl_b64 s[46:47], s[46:47], 2
	;; [unrolled: 1-line block ×4, first 2 shown]
	s_cmp_lt_i32 s7, 1
	s_add_nc_u64 s[20:21], s[20:21], s[50:51]
	s_cselect_b32 s39, -1, 0
	s_cmp_gt_i32 s10, 0
	s_load_b32 s50, s[0:1], 0x11c
	s_cselect_b32 s74, -1, 0
	s_cmp_gt_i32 s11, 0
	s_wait_xcnt 0x0
	s_add_nc_u64 s[0:1], s[42:43], s[44:45]
	s_cselect_b32 s75, -1, 0
	s_cmp_gt_i32 s12, 0
	s_add_nc_u64 s[42:43], s[0:1], s[48:49]
	s_cselect_b32 s76, -1, 0
	s_abs_i32 s77, s9
	s_abs_i32 s78, s2
	s_cvt_f32_u32 s1, s77
	s_cvt_f32_u32 s51, s78
	s_abs_i32 s80, s52
	s_abs_i32 s82, s31
	v_rcp_iflag_f32_e32 v1, s1
	s_cvt_f32_u32 s31, s82
	s_abs_i32 s83, s56
	s_ashr_i32 s84, s52, 31
	s_cvt_f32_u32 s54, s83
	s_mul_i32 s0, s3, s8
	s_wait_kmcnt 0x0
	s_and_b32 s81, s50, 0xffff
	v_nop
	v_readfirstlane_b32 s1, v1
	v_rcp_iflag_f32_e32 v1, s51
	s_or_b32 s79, s30, s34
	s_sub_co_i32 s34, 0, s77
	s_ashr_i32 s61, s12, 31
	s_mul_f32 s53, s1, 0x4f7ffffe
	s_ashr_i32 s1, s0, 31
	s_mul_i32 s44, s3, s9
	v_nop
	v_readfirstlane_b32 s51, v1
	s_cvt_u32_f32 s30, s53
	s_cvt_f32_u32 s53, s80
	s_ashr_i32 s3, s11, 31
	s_mov_b32 s2, s11
	s_mul_i32 s34, s34, s30
	v_rcp_iflag_f32_e32 v1, s53
	s_mul_f32 s50, s51, 0x4f7ffffe
	s_mul_hi_u32 s34, s30, s34
	s_sub_co_i32 s57, 0, s83
	s_add_co_i32 s30, s30, s34
	s_cvt_u32_f32 s34, s50
	s_sub_co_i32 s50, 0, s78
	v_nop
	v_readfirstlane_b32 s51, v1
	v_rcp_iflag_f32_e32 v1, s31
	s_mul_i32 s50, s50, s34
	s_mul_u64 s[62:63], s[60:61], s[0:1]
	s_mul_hi_u32 s50, s34, s50
	s_mul_f32 s53, s51, 0x4f7ffffe
	s_add_co_i32 s50, s34, s50
	s_ashr_i32 s59, s10, 31
	v_nop
	v_readfirstlane_b32 s55, v1
	v_rcp_iflag_f32_e32 v1, s54
	s_cvt_u32_f32 s34, s53
	s_sub_co_i32 s54, 0, s80
	s_mul_u64 s[2:3], s[62:63], s[2:3]
	s_mul_f32 s53, s55, 0x4f7ffffe
	s_mul_i32 s54, s54, s34
	v_mov_b32_e32 v3, 0
	s_mul_hi_u32 s52, s34, s54
	s_cvt_u32_f32 s55, s53
	v_readfirstlane_b32 s53, v1
	s_add_co_i32 s52, s34, s52
	s_sub_co_i32 s54, 0, s82
	s_ashr_i32 s85, s56, 31
	s_mul_i32 s54, s54, s55
	s_mul_f32 s34, s53, 0x4f7ffffe
	s_mul_hi_u32 s54, s55, s54
	s_mul_u64 s[58:59], s[2:3], s[58:59]
	s_add_nc_u64 s[22:23], s[22:23], s[46:47]
	s_cvt_u32_f32 s34, s34
	s_ashr_i32 s9, s4, 31
	s_mov_b32 s8, s4
	s_ashr_i32 s47, s5, 31
	s_mul_i32 s57, s57, s34
	s_mov_b32 s46, s5
	s_mul_hi_u32 s56, s34, s57
	s_ashr_i32 s49, s6, 31
	s_mov_b32 s48, s6
	s_ashr_i32 s45, s44, 31
	s_mov_b32 s31, s35
	s_mov_b32 s51, s35
	;; [unrolled: 1-line block ×3, first 2 shown]
	s_add_co_i32 s54, s55, s54
	s_mov_b32 s55, s35
	s_add_co_i32 s56, s34, s56
	s_mov_b32 s57, s35
	s_lshl_b64 s[58:59], s[58:59], 2
	s_lshl_b64 s[60:61], s[2:3], 2
	;; [unrolled: 1-line block ×4, first 2 shown]
	s_sub_co_i32 s29, 0, s29
	s_mov_b32 s86, 0
	s_branch .LBB86_3
.LBB86_2:                               ;   in Loop: Header=BB86_3 Depth=1
	s_delay_alu instid0(VALU_DEP_1) | instskip(SKIP_1) | instid1(VALU_DEP_1)
	v_cvt_f32_f64_e32 v1, v[6:7]
	v_add_nc_u32_e32 v0, s81, v0
	v_cmp_le_i32_e32 vcc_lo, s33, v0
	s_or_b32 s86, vcc_lo, s86
	global_store_b32 v[4:5], v1, off
	s_wait_xcnt 0x0
	s_and_not1_b32 exec_lo, exec_lo, s86
	s_cbranch_execz .LBB86_21
.LBB86_3:                               ; =>This Loop Header: Depth=1
                                        ;     Child Loop BB86_8 Depth 2
                                        ;       Child Loop BB86_11 Depth 3
                                        ;         Child Loop BB86_14 Depth 4
                                        ;           Child Loop BB86_17 Depth 5
	v_sub_nc_u32_e32 v1, 0, v0
	s_mov_b32 s34, -1
	s_delay_alu instid0(VALU_DEP_1) | instskip(NEXT) | instid1(VALU_DEP_1)
	v_max_i32_e32 v2, v0, v1
	v_mul_u64_e32 v[4:5], s[30:31], v[2:3]
	v_mul_u64_e32 v[6:7], s[52:53], v[2:3]
	s_delay_alu instid0(VALU_DEP_2) | instskip(NEXT) | instid1(VALU_DEP_2)
	v_mul_lo_u32 v1, v5, s77
	v_mul_lo_u32 v4, v7, s80
	v_add_nc_u32_e32 v8, 1, v5
	s_delay_alu instid0(VALU_DEP_3) | instskip(NEXT) | instid1(VALU_DEP_3)
	v_dual_sub_nc_u32 v6, v2, v1 :: v_dual_ashrrev_i32 v1, 31, v0
	v_sub_nc_u32_e32 v4, v2, v4
	s_delay_alu instid0(VALU_DEP_2) | instskip(SKIP_1) | instid1(VALU_DEP_3)
	v_cmp_le_u32_e32 vcc_lo, s77, v6
	v_add_nc_u32_e32 v9, 1, v7
	v_cmp_le_u32_e64 s0, s80, v4
	v_subrev_nc_u32_e32 v10, s80, v4
	v_cndmask_b32_e32 v5, v5, v8, vcc_lo
	v_subrev_nc_u32_e32 v8, s77, v6
	s_delay_alu instid0(VALU_DEP_4) | instskip(NEXT) | instid1(VALU_DEP_4)
	v_cndmask_b32_e64 v7, v7, v9, s0
	v_dual_cndmask_b32 v4, v4, v10, s0 :: v_dual_bitop2_b32 v9, s37, v1 bitop3:0x14
	s_delay_alu instid0(VALU_DEP_3) | instskip(NEXT) | instid1(VALU_DEP_3)
	v_dual_cndmask_b32 v6, v6, v8, vcc_lo :: v_dual_add_nc_u32 v8, 1, v5
	v_add_nc_u32_e32 v10, 1, v7
	s_delay_alu instid0(VALU_DEP_2) | instskip(NEXT) | instid1(VALU_DEP_3)
	v_cmp_le_u32_e32 vcc_lo, s77, v6
	v_dual_cndmask_b32 v5, v5, v8, vcc_lo :: v_dual_bitop2_b32 v11, s84, v1 bitop3:0x14
	v_cmp_le_u32_e32 vcc_lo, s80, v4
	s_delay_alu instid0(VALU_DEP_2) | instskip(NEXT) | instid1(VALU_DEP_1)
	v_dual_cndmask_b32 v4, v7, v10, vcc_lo :: v_dual_bitop2_b32 v5, v5, v9 bitop3:0x14
	v_dual_sub_nc_u32 v9, v5, v9 :: v_dual_bitop2_b32 v4, v4, v11 bitop3:0x14
	s_delay_alu instid0(VALU_DEP_1) | instskip(NEXT) | instid1(VALU_DEP_2)
	v_dual_mov_b32 v5, v3 :: v_dual_sub_nc_u32 v8, v4, v11
	v_dual_mov_b32 v11, v3 :: v_dual_sub_nc_u32 v4, 0, v9
	s_delay_alu instid0(VALU_DEP_2) | instskip(NEXT) | instid1(VALU_DEP_2)
	v_sub_nc_u32_e32 v6, 0, v8
	v_max_i32_e32 v4, v9, v4
	s_delay_alu instid0(VALU_DEP_2) | instskip(NEXT) | instid1(VALU_DEP_2)
	v_max_i32_e32 v10, v8, v6
	v_mul_u64_e32 v[12:13], s[50:51], v[4:5]
	v_mul_u64_e32 v[6:7], s[56:57], v[2:3]
	s_delay_alu instid0(VALU_DEP_3) | instskip(NEXT) | instid1(VALU_DEP_3)
	v_mul_u64_e32 v[14:15], s[54:55], v[10:11]
	v_mul_lo_u32 v5, v13, s78
	s_delay_alu instid0(VALU_DEP_3) | instskip(NEXT) | instid1(VALU_DEP_3)
	v_mul_lo_u32 v11, v7, s83
	v_mul_lo_u32 v6, v15, s82
	s_delay_alu instid0(VALU_DEP_1) | instskip(NEXT) | instid1(VALU_DEP_1)
	v_dual_sub_nc_u32 v4, v4, v5 :: v_dual_sub_nc_u32 v5, v10, v6
	v_cmp_le_u32_e32 vcc_lo, s78, v4
	s_delay_alu instid0(VALU_DEP_4) | instskip(SKIP_3) | instid1(VALU_DEP_3)
	v_sub_nc_u32_e32 v10, v2, v11
	v_subrev_nc_u32_e32 v2, s78, v4
	v_mul_lo_u32 v11, v9, s36
	v_subrev_nc_u32_e32 v6, s82, v5
	v_cndmask_b32_e32 v2, v4, v2, vcc_lo
	v_subrev_nc_u32_e32 v12, s83, v10
	v_cmp_le_u32_e32 vcc_lo, s82, v5
	v_cmp_le_u32_e64 s3, s83, v10
	s_delay_alu instid0(VALU_DEP_4) | instskip(NEXT) | instid1(VALU_DEP_2)
	v_cmp_le_u32_e64 s2, s78, v2
	v_dual_cndmask_b32 v6, v5, v6, vcc_lo :: v_dual_cndmask_b32 v5, v10, v12, s3
	v_sub_nc_u32_e32 v4, v0, v11
	s_and_not1_b32 vcc_lo, exec_lo, s39
	s_delay_alu instid0(VALU_DEP_2) | instskip(NEXT) | instid1(VALU_DEP_3)
	v_cmp_le_u32_e64 s1, s82, v6
	v_cmp_le_u32_e64 s0, s83, v5
	s_cbranch_vccnz .LBB86_5
; %bb.4:                                ;   in Loop: Header=BB86_3 Depth=1
	v_ashrrev_i32_e32 v5, 31, v4
	s_mov_b32 s34, 0
.LBB86_5:                               ;   in Loop: Header=BB86_3 Depth=1
	v_dual_add_nc_u32 v10, 1, v7 :: v_dual_ashrrev_i32 v9, 31, v9
	v_subrev_nc_u32_e32 v11, s82, v6
	s_and_not1_b32 vcc_lo, exec_lo, s34
	s_delay_alu instid0(VALU_DEP_2) | instskip(SKIP_1) | instid1(VALU_DEP_3)
	v_dual_cndmask_b32 v7, v7, v10, s3 :: v_dual_bitop2_b32 v1, s85, v1 bitop3:0x14
	v_subrev_nc_u32_e32 v10, s78, v2
	v_cndmask_b32_e64 v6, v6, v11, s1
	s_delay_alu instid0(VALU_DEP_2) | instskip(NEXT) | instid1(VALU_DEP_1)
	v_dual_cndmask_b32 v2, v2, v10, s2 :: v_dual_add_nc_u32 v12, 1, v7
	v_dual_ashrrev_i32 v10, 31, v8 :: v_dual_bitop2_b32 v2, v2, v9 bitop3:0x14
	s_delay_alu instid0(VALU_DEP_2) | instskip(NEXT) | instid1(VALU_DEP_1)
	v_cndmask_b32_e64 v7, v7, v12, s0
	v_xor_b32_e32 v12, v7, v1
	s_delay_alu instid0(VALU_DEP_3) | instskip(SKIP_1) | instid1(VALU_DEP_3)
	v_xor_b32_e32 v11, v6, v10
	v_mov_b64_e32 v[6:7], 0
	v_sub_nc_u32_e32 v1, v12, v1
	s_delay_alu instid0(VALU_DEP_3)
	v_dual_sub_nc_u32 v8, v2, v9 :: v_dual_sub_nc_u32 v10, v11, v10
	s_cbranch_vccnz .LBB86_19
; %bb.6:                                ;   in Loop: Header=BB86_3 Depth=1
	s_delay_alu instid0(VALU_DEP_2) | instskip(NEXT) | instid1(VALU_DEP_2)
	v_mul_lo_u32 v9, v1, s16
	v_mul_lo_u32 v11, v10, s17
	s_delay_alu instid0(VALU_DEP_3) | instskip(SKIP_4) | instid1(VALU_DEP_2)
	v_mad_u32 v18, v8, s18, s29
	v_ashrrev_i32_e32 v5, 31, v4
	v_mov_b64_e32 v[6:7], 0
	s_mov_b32 s34, 0
	s_mov_b64 s[2:3], s[42:43]
	v_lshl_add_u64 v[12:13], v[4:5], 2, s[20:21]
	s_branch .LBB86_8
.LBB86_7:                               ;   in Loop: Header=BB86_8 Depth=2
	s_add_co_i32 s34, s34, 1
	s_add_nc_u64 s[2:3], s[2:3], s[58:59]
	s_cmp_eq_u32 s34, s7
	s_cbranch_scc1 .LBB86_19
.LBB86_8:                               ;   Parent Loop BB86_3 Depth=1
                                        ; =>  This Loop Header: Depth=2
                                        ;       Child Loop BB86_11 Depth 3
                                        ;         Child Loop BB86_14 Depth 4
                                        ;           Child Loop BB86_17 Depth 5
	s_and_not1_b32 vcc_lo, exec_lo, s74
	s_cbranch_vccnz .LBB86_7
; %bb.9:                                ;   in Loop: Header=BB86_8 Depth=2
	s_mul_u64 s[66:67], s[34:35], s[8:9]
	s_mov_b32 s1, 0
	s_mov_b64 s[68:69], s[2:3]
	s_branch .LBB86_11
.LBB86_10:                              ;   in Loop: Header=BB86_11 Depth=3
	s_add_co_i32 s1, s1, 1
	s_add_nc_u64 s[68:69], s[68:69], s[60:61]
	s_cmp_eq_u32 s1, s10
	s_cbranch_scc1 .LBB86_7
.LBB86_11:                              ;   Parent Loop BB86_3 Depth=1
                                        ;     Parent Loop BB86_8 Depth=2
                                        ; =>    This Loop Header: Depth=3
                                        ;         Child Loop BB86_14 Depth 4
                                        ;           Child Loop BB86_17 Depth 5
	s_and_not1_b32 vcc_lo, exec_lo, s75
	s_cbranch_vccnz .LBB86_10
; %bb.12:                               ;   in Loop: Header=BB86_11 Depth=3
	s_mul_i32 s0, s1, s13
	s_mov_b32 s87, 0
	s_sub_co_i32 s0, s0, s19
	s_mov_b64 s[70:71], s[68:69]
	v_add_nc_u32_e32 v2, s0, v9
	s_delay_alu instid0(VALU_DEP_1)
	v_add_nc_u64_e32 v[14:15], s[66:67], v[2:3]
	v_cmp_gt_i32_e32 vcc_lo, 0, v2
	v_cmp_le_i32_e64 s0, s4, v2
	s_or_b32 s88, vcc_lo, s0
	v_mul_u64_e32 v[14:15], s[46:47], v[14:15]
	s_branch .LBB86_14
.LBB86_13:                              ;   in Loop: Header=BB86_14 Depth=4
	s_add_co_i32 s87, s87, 1
	s_add_nc_u64 s[70:71], s[70:71], s[62:63]
	s_cmp_eq_u32 s87, s11
	s_cbranch_scc1 .LBB86_10
.LBB86_14:                              ;   Parent Loop BB86_3 Depth=1
                                        ;     Parent Loop BB86_8 Depth=2
                                        ;       Parent Loop BB86_11 Depth=3
                                        ; =>      This Loop Header: Depth=4
                                        ;           Child Loop BB86_17 Depth 5
	s_and_not1_b32 vcc_lo, exec_lo, s76
	s_cbranch_vccnz .LBB86_13
; %bb.15:                               ;   in Loop: Header=BB86_14 Depth=4
	s_mul_i32 s0, s87, s14
	s_mov_b64 s[72:73], s[70:71]
	s_sub_co_i32 s0, s0, s28
	s_mov_b32 s90, s12
	v_add_nc_u32_e32 v2, s0, v11
	s_delay_alu instid0(VALU_DEP_1)
	v_add_nc_u64_e32 v[16:17], v[14:15], v[2:3]
	v_cmp_gt_i32_e32 vcc_lo, 0, v2
	v_cmp_le_i32_e64 s0, s5, v2
	v_mov_b32_e32 v2, v18
	s_or_b32 s0, vcc_lo, s0
	v_mul_u64_e32 v[16:17], s[48:49], v[16:17]
	s_or_b32 s89, s88, s0
	s_branch .LBB86_17
.LBB86_16:                              ;   in Loop: Header=BB86_17 Depth=5
	s_or_b32 exec_lo, exec_lo, s0
	v_add_nc_u32_e32 v2, s15, v2
	s_add_co_i32 s90, s90, -1
	s_add_nc_u64 s[72:73], s[72:73], s[64:65]
	s_cmp_eq_u32 s90, 0
	s_cbranch_scc1 .LBB86_13
.LBB86_17:                              ;   Parent Loop BB86_3 Depth=1
                                        ;     Parent Loop BB86_8 Depth=2
                                        ;       Parent Loop BB86_11 Depth=3
                                        ;         Parent Loop BB86_14 Depth=4
                                        ; =>        This Inner Loop Header: Depth=5
	v_cmp_gt_i32_e32 vcc_lo, 0, v2
	v_cmp_le_i32_e64 s0, s6, v2
	s_or_b32 s0, vcc_lo, s0
	s_delay_alu instid0(SALU_CYCLE_1) | instskip(NEXT) | instid1(SALU_CYCLE_1)
	s_nor_b32 s91, s89, s0
	s_and_saveexec_b32 s0, s91
	s_cbranch_execz .LBB86_16
; %bb.18:                               ;   in Loop: Header=BB86_17 Depth=5
	v_add_nc_u64_e32 v[20:21], v[16:17], v[2:3]
	s_load_b32 s91, s[72:73], 0x0
	s_delay_alu instid0(VALU_DEP_1) | instskip(SKIP_2) | instid1(VALU_DEP_2)
	v_mul_u64_e32 v[20:21], s[44:45], v[20:21]
	s_wait_kmcnt 0x0
	v_cvt_f64_f32_e32 v[22:23], s91
	v_lshl_add_u64 v[20:21], v[20:21], 2, v[12:13]
	global_load_b32 v19, v[20:21], off
	s_wait_loadcnt 0x0
	s_wait_xcnt 0x0
	v_cvt_f64_f32_e32 v[20:21], v19
	s_delay_alu instid0(VALU_DEP_1)
	v_fmac_f64_e32 v[6:7], v[20:21], v[22:23]
	s_branch .LBB86_16
.LBB86_19:                              ;   in Loop: Header=BB86_3 Depth=1
	s_delay_alu instid0(VALU_DEP_1) | instskip(SKIP_1) | instid1(VALU_DEP_1)
	v_dual_ashrrev_i32 v11, 31, v10 :: v_dual_ashrrev_i32 v9, 31, v8
	s_and_not1_b32 vcc_lo, exec_lo, s79
	v_mad_nc_i64_i32 v[10:11], v1, s38, v[10:11]
	s_delay_alu instid0(VALU_DEP_1) | instskip(NEXT) | instid1(VALU_DEP_1)
	v_mad_nc_u64_u32 v[8:9], v10, s40, v[8:9]
	v_mad_u32 v1, v11, s40, v9
	s_delay_alu instid0(VALU_DEP_1) | instskip(NEXT) | instid1(VALU_DEP_1)
	v_mad_u32 v9, v10, s41, v1
	v_mul_u64_e32 v[8:9], s[36:37], v[8:9]
	s_delay_alu instid0(VALU_DEP_1) | instskip(NEXT) | instid1(VALU_DEP_1)
	v_lshl_add_u64 v[8:9], v[8:9], 2, s[22:23]
	v_lshl_add_u64 v[4:5], v[4:5], 2, v[8:9]
	s_cbranch_vccnz .LBB86_2
; %bb.20:                               ;   in Loop: Header=BB86_3 Depth=1
	global_load_b32 v1, v[4:5], off
	s_wait_loadcnt 0x0
	v_cvt_f64_f32_e32 v[8:9], v1
	s_delay_alu instid0(VALU_DEP_1) | instskip(NEXT) | instid1(VALU_DEP_1)
	v_mul_f64_e32 v[8:9], s[26:27], v[8:9]
	v_fmac_f64_e32 v[8:9], s[24:25], v[6:7]
	s_delay_alu instid0(VALU_DEP_1)
	v_mov_b64_e32 v[6:7], v[8:9]
	s_branch .LBB86_2
.LBB86_21:
	s_endpgm
	.section	.rodata,"a",@progbits
	.p2align	6, 0x0
	.amdhsa_kernel naive_conv_ab_packed_wrw_ndhwc_float_double_float
		.amdhsa_group_segment_fixed_size 0
		.amdhsa_private_segment_fixed_size 0
		.amdhsa_kernarg_size 528
		.amdhsa_user_sgpr_count 2
		.amdhsa_user_sgpr_dispatch_ptr 0
		.amdhsa_user_sgpr_queue_ptr 0
		.amdhsa_user_sgpr_kernarg_segment_ptr 1
		.amdhsa_user_sgpr_dispatch_id 0
		.amdhsa_user_sgpr_kernarg_preload_length 0
		.amdhsa_user_sgpr_kernarg_preload_offset 0
		.amdhsa_user_sgpr_private_segment_size 0
		.amdhsa_wavefront_size32 1
		.amdhsa_uses_dynamic_stack 0
		.amdhsa_enable_private_segment 0
		.amdhsa_system_sgpr_workgroup_id_x 1
		.amdhsa_system_sgpr_workgroup_id_y 0
		.amdhsa_system_sgpr_workgroup_id_z 0
		.amdhsa_system_sgpr_workgroup_info 0
		.amdhsa_system_vgpr_workitem_id 0
		.amdhsa_next_free_vgpr 24
		.amdhsa_next_free_sgpr 92
		.amdhsa_named_barrier_count 0
		.amdhsa_reserve_vcc 1
		.amdhsa_float_round_mode_32 0
		.amdhsa_float_round_mode_16_64 0
		.amdhsa_float_denorm_mode_32 3
		.amdhsa_float_denorm_mode_16_64 3
		.amdhsa_fp16_overflow 0
		.amdhsa_memory_ordered 1
		.amdhsa_forward_progress 1
		.amdhsa_inst_pref_size 15
		.amdhsa_round_robin_scheduling 0
		.amdhsa_exception_fp_ieee_invalid_op 0
		.amdhsa_exception_fp_denorm_src 0
		.amdhsa_exception_fp_ieee_div_zero 0
		.amdhsa_exception_fp_ieee_overflow 0
		.amdhsa_exception_fp_ieee_underflow 0
		.amdhsa_exception_fp_ieee_inexact 0
		.amdhsa_exception_int_div_zero 0
	.end_amdhsa_kernel
	.text
.Lfunc_end86:
	.size	naive_conv_ab_packed_wrw_ndhwc_float_double_float, .Lfunc_end86-naive_conv_ab_packed_wrw_ndhwc_float_double_float
                                        ; -- End function
	.set naive_conv_ab_packed_wrw_ndhwc_float_double_float.num_vgpr, 24
	.set naive_conv_ab_packed_wrw_ndhwc_float_double_float.num_agpr, 0
	.set naive_conv_ab_packed_wrw_ndhwc_float_double_float.numbered_sgpr, 92
	.set naive_conv_ab_packed_wrw_ndhwc_float_double_float.num_named_barrier, 0
	.set naive_conv_ab_packed_wrw_ndhwc_float_double_float.private_seg_size, 0
	.set naive_conv_ab_packed_wrw_ndhwc_float_double_float.uses_vcc, 1
	.set naive_conv_ab_packed_wrw_ndhwc_float_double_float.uses_flat_scratch, 0
	.set naive_conv_ab_packed_wrw_ndhwc_float_double_float.has_dyn_sized_stack, 0
	.set naive_conv_ab_packed_wrw_ndhwc_float_double_float.has_recursion, 0
	.set naive_conv_ab_packed_wrw_ndhwc_float_double_float.has_indirect_call, 0
	.section	.AMDGPU.csdata,"",@progbits
; Kernel info:
; codeLenInByte = 1912
; TotalNumSgprs: 94
; NumVgprs: 24
; ScratchSize: 0
; MemoryBound: 0
; FloatMode: 240
; IeeeMode: 1
; LDSByteSize: 0 bytes/workgroup (compile time only)
; SGPRBlocks: 0
; VGPRBlocks: 1
; NumSGPRsForWavesPerEU: 94
; NumVGPRsForWavesPerEU: 24
; NamedBarCnt: 0
; Occupancy: 16
; WaveLimiterHint : 0
; COMPUTE_PGM_RSRC2:SCRATCH_EN: 0
; COMPUTE_PGM_RSRC2:USER_SGPR: 2
; COMPUTE_PGM_RSRC2:TRAP_HANDLER: 0
; COMPUTE_PGM_RSRC2:TGID_X_EN: 1
; COMPUTE_PGM_RSRC2:TGID_Y_EN: 0
; COMPUTE_PGM_RSRC2:TGID_Z_EN: 0
; COMPUTE_PGM_RSRC2:TIDIG_COMP_CNT: 0
	.text
	.protected	naive_conv_ab_nonpacked_wrw_ndhwc_float_double_float ; -- Begin function naive_conv_ab_nonpacked_wrw_ndhwc_float_double_float
	.globl	naive_conv_ab_nonpacked_wrw_ndhwc_float_double_float
	.p2align	8
	.type	naive_conv_ab_nonpacked_wrw_ndhwc_float_double_float,@function
naive_conv_ab_nonpacked_wrw_ndhwc_float_double_float: ; @naive_conv_ab_nonpacked_wrw_ndhwc_float_double_float
; %bb.0:
	s_clause 0x2
	s_load_b512 s[4:19], s[0:1], 0xb8
	s_load_b32 s68, s[0:1], 0x108
	s_load_b128 s[28:31], s[0:1], 0xf8
	s_bfe_u32 s2, ttmp6, 0x4000c
	s_and_b32 s3, ttmp6, 15
	s_add_co_i32 s2, s2, 1
	s_getreg_b32 s20, hwreg(HW_REG_IB_STS2, 6, 4)
	s_mul_i32 s2, ttmp9, s2
	s_mov_b32 s35, 0
	s_add_co_i32 s3, s3, s2
	s_cmp_eq_u32 s20, 0
	s_mov_b32 s21, exec_lo
	s_cselect_b32 s69, ttmp9, s3
	s_wait_kmcnt 0x0
	s_abs_i32 s70, s8
	s_mul_i32 s3, s68, s9
	s_cvt_f32_u32 s2, s70
	s_delay_alu instid0(SALU_CYCLE_3) | instskip(SKIP_1) | instid1(SALU_CYCLE_1)
	v_rcp_iflag_f32_e32 v1, s2
	s_mul_i32 s2, s3, s31
	s_mul_i32 s33, s2, s30
	v_nop
	s_delay_alu instid0(TRANS32_DEP_1)
	v_readfirstlane_b32 s20, v1
	v_cmpx_gt_i32_e64 s33, v0
	s_cbranch_execz .LBB87_21
; %bb.1:
	s_mul_f32 s30, s20, 0x4f7ffffe
	s_sub_co_i32 s34, 0, s70
	s_mov_b32 s53, s35
	s_load_b256 s[20:27], s[0:1], 0x0
	s_cvt_u32_f32 s30, s30
	s_ashr_i32 s71, s69, 31
	s_ashr_i32 s74, s8, 31
	v_mov_b32_e32 v3, 0
	s_mul_i32 s36, s34, s30
	s_abs_i32 s34, s69
	s_mul_hi_u32 s36, s30, s36
	s_xor_b32 s71, s71, s74
	s_add_co_i32 s52, s30, s36
	s_load_b512 s[36:51], s[0:1], 0x28
	s_mul_u64 s[72:73], s[34:35], s[52:53]
	s_load_b512 s[52:67], s[0:1], 0x68
	s_mul_i32 s30, s73, s70
	s_load_b64 s[74:75], s[0:1], 0x20
	s_sub_co_i32 s30, s34, s30
	s_add_co_i32 s34, s73, 1
	s_sub_co_i32 s72, s30, s70
	s_cmp_ge_u32 s30, s70
	s_mov_b32 s91, 0
	s_cselect_b32 s34, s34, s73
	s_cselect_b32 s30, s72, s30
	s_add_co_i32 s72, s34, 1
	s_cmp_ge_u32 s30, s70
	s_cselect_b32 s30, s72, s34
	s_wait_kmcnt 0x0
	v_cmp_neq_f64_e64 s34, s[24:25], 1.0
	s_xor_b32 s30, s30, s71
	s_delay_alu instid0(SALU_CYCLE_1)
	s_sub_co_i32 s70, s30, s71
	v_cmp_neq_f64_e64 s30, s[26:27], 0
	s_mul_i32 s8, s70, s8
	s_ashr_i32 s71, s70, 31
	s_sub_co_i32 s72, s69, s8
	s_mul_u64 s[58:59], s[58:59], s[70:71]
	s_ashr_i32 s73, s72, 31
	s_mul_u64 s[38:39], s[38:39], s[70:71]
	s_mul_u64 s[62:63], s[62:63], s[70:71]
	s_lshl_b64 s[70:71], s[58:59], 2
	s_mul_u64 s[56:57], s[56:57], s[72:73]
	s_mul_u64 s[58:59], s[60:61], s[72:73]
	s_lshl_b64 s[38:39], s[38:39], 2
	s_lshl_b64 s[62:63], s[62:63], 2
	;; [unrolled: 1-line block ×4, first 2 shown]
	s_cmp_lt_i32 s7, 1
	s_load_b32 s69, s[0:1], 0x11c
	s_cselect_b32 s8, -1, 0
	s_cmp_gt_i32 s10, 0
	s_add_nc_u64 s[20:21], s[20:21], s[38:39]
	s_cselect_b32 s78, -1, 0
	s_cmp_gt_i32 s11, 0
	s_add_nc_u64 s[38:39], s[74:75], s[62:63]
	;; [unrolled: 3-line block ×3, first 2 shown]
	s_cselect_b32 s80, -1, 0
	s_abs_i32 s81, s9
	s_abs_i32 s82, s68
	s_cvt_f32_u32 s56, s81
	s_cvt_f32_u32 s68, s82
	s_abs_i32 s85, s3
	s_or_b32 s86, s34, s30
	v_rcp_iflag_f32_e32 v1, s56
	s_load_b128 s[56:59], s[0:1], 0xa8
	s_wait_xcnt 0x0
	s_add_nc_u64 s[0:1], s[22:23], s[70:71]
	s_cvt_f32_u32 s30, s85
	s_add_nc_u64 s[22:23], s[0:1], s[60:61]
	v_rcp_iflag_f32_e32 v2, s68
	s_sub_co_i32 s34, 0, s81
	v_readfirstlane_b32 s0, v1
	v_rcp_iflag_f32_e32 v1, s30
	s_abs_i32 s87, s31
	s_abs_i32 s88, s2
	s_sub_co_i32 s31, 0, s82
	s_mul_f32 s0, s0, 0x4f7ffffe
	v_readfirstlane_b32 s1, v2
	s_ashr_i32 s89, s3, 31
	v_readfirstlane_b32 s60, v1
	s_cvt_u32_f32 s0, s0
	s_sub_co_i32 s3, 0, s87
	s_mul_f32 s1, s1, 0x4f7ffffe
	s_wait_kmcnt 0x0
	s_and_b32 s83, s69, 0xffff
	s_mul_i32 s34, s34, s0
	s_ashr_i32 s84, s9, 31
	s_mul_hi_u32 s30, s0, s34
	s_cvt_f32_u32 s34, s87
	s_cvt_u32_f32 s1, s1
	s_add_co_i32 s30, s0, s30
	s_mov_b32 s61, s35
	v_rcp_iflag_f32_e32 v1, s34
	s_mul_f32 s34, s60, 0x4f7ffffe
	s_cvt_f32_u32 s60, s88
	s_mul_i32 s0, s31, s1
	s_mov_b32 s31, s35
	s_mul_hi_u32 s0, s1, s0
	v_rcp_iflag_f32_e32 v2, s60
	v_readfirstlane_b32 s62, v1
	s_cvt_u32_f32 s34, s34
	s_add_co_i32 s60, s1, s0
	s_sub_co_i32 s0, 0, s85
	s_mov_b32 s69, s35
	s_mul_i32 s0, s0, s34
	v_readfirstlane_b32 s63, v2
	s_mul_f32 s1, s62, 0x4f7ffffe
	s_mul_hi_u32 s0, s34, s0
	s_ashr_i32 s90, s2, 31
	s_add_co_i32 s62, s34, s0
	s_cvt_u32_f32 s0, s1
	s_mul_f32 s1, s63, 0x4f7ffffe
	s_sub_co_i32 s34, 0, s88
	s_mov_b32 s63, s35
	s_mul_i32 s3, s3, s0
	s_cvt_u32_f32 s1, s1
	s_mul_hi_u32 s3, s0, s3
	s_mov_b32 s71, s35
	s_add_co_i32 s68, s0, s3
	s_mul_i32 s34, s34, s1
	s_lshl_b64 s[58:59], s[58:59], 2
	s_mul_hi_u32 s0, s1, s34
	s_lshl_b64 s[56:57], s[56:57], 2
	s_add_co_i32 s70, s1, s0
	s_lshl_b64 s[66:67], s[66:67], 2
	s_lshl_b64 s[64:65], s[64:65], 2
	s_sub_co_i32 s29, 0, s29
	s_branch .LBB87_3
.LBB87_2:                               ;   in Loop: Header=BB87_3 Depth=1
	s_delay_alu instid0(VALU_DEP_1) | instskip(SKIP_1) | instid1(VALU_DEP_1)
	v_cvt_f32_f64_e32 v1, v[6:7]
	v_add_nc_u32_e32 v0, s83, v0
	v_cmp_le_i32_e32 vcc_lo, s33, v0
	s_or_b32 s91, vcc_lo, s91
	global_store_b32 v[4:5], v1, off
	s_wait_xcnt 0x0
	s_and_not1_b32 exec_lo, exec_lo, s91
	s_cbranch_execz .LBB87_21
.LBB87_3:                               ; =>This Loop Header: Depth=1
                                        ;     Child Loop BB87_8 Depth 2
                                        ;       Child Loop BB87_11 Depth 3
                                        ;         Child Loop BB87_14 Depth 4
                                        ;           Child Loop BB87_17 Depth 5
	v_sub_nc_u32_e32 v1, 0, v0
	s_mov_b32 s34, -1
	s_delay_alu instid0(VALU_DEP_1) | instskip(NEXT) | instid1(VALU_DEP_1)
	v_max_i32_e32 v2, v0, v1
	v_mul_u64_e32 v[4:5], s[30:31], v[2:3]
	v_mul_u64_e32 v[6:7], s[62:63], v[2:3]
	s_delay_alu instid0(VALU_DEP_2) | instskip(NEXT) | instid1(VALU_DEP_2)
	v_mul_lo_u32 v1, v5, s81
	v_mul_lo_u32 v4, v7, s85
	v_add_nc_u32_e32 v8, 1, v5
	s_delay_alu instid0(VALU_DEP_3) | instskip(NEXT) | instid1(VALU_DEP_3)
	v_dual_sub_nc_u32 v6, v2, v1 :: v_dual_ashrrev_i32 v1, 31, v0
	v_sub_nc_u32_e32 v4, v2, v4
	s_delay_alu instid0(VALU_DEP_2) | instskip(SKIP_1) | instid1(VALU_DEP_3)
	v_cmp_le_u32_e32 vcc_lo, s81, v6
	v_add_nc_u32_e32 v9, 1, v7
	v_cmp_le_u32_e64 s0, s85, v4
	v_subrev_nc_u32_e32 v10, s85, v4
	v_cndmask_b32_e32 v5, v5, v8, vcc_lo
	v_subrev_nc_u32_e32 v8, s81, v6
	s_delay_alu instid0(VALU_DEP_4) | instskip(NEXT) | instid1(VALU_DEP_4)
	v_cndmask_b32_e64 v7, v7, v9, s0
	v_dual_cndmask_b32 v4, v4, v10, s0 :: v_dual_bitop2_b32 v9, s84, v1 bitop3:0x14
	s_delay_alu instid0(VALU_DEP_3) | instskip(NEXT) | instid1(VALU_DEP_3)
	v_dual_cndmask_b32 v6, v6, v8, vcc_lo :: v_dual_add_nc_u32 v8, 1, v5
	v_add_nc_u32_e32 v10, 1, v7
	s_delay_alu instid0(VALU_DEP_2) | instskip(NEXT) | instid1(VALU_DEP_3)
	v_cmp_le_u32_e32 vcc_lo, s81, v6
	v_dual_cndmask_b32 v5, v5, v8, vcc_lo :: v_dual_bitop2_b32 v11, s89, v1 bitop3:0x14
	v_cmp_le_u32_e32 vcc_lo, s85, v4
	s_delay_alu instid0(VALU_DEP_2) | instskip(NEXT) | instid1(VALU_DEP_1)
	v_dual_cndmask_b32 v4, v7, v10, vcc_lo :: v_dual_bitop2_b32 v5, v5, v9 bitop3:0x14
	v_dual_sub_nc_u32 v9, v5, v9 :: v_dual_bitop2_b32 v4, v4, v11 bitop3:0x14
	s_delay_alu instid0(VALU_DEP_1) | instskip(NEXT) | instid1(VALU_DEP_2)
	v_dual_mov_b32 v5, v3 :: v_dual_sub_nc_u32 v8, v4, v11
	v_dual_mov_b32 v11, v3 :: v_dual_sub_nc_u32 v4, 0, v9
	s_delay_alu instid0(VALU_DEP_2) | instskip(NEXT) | instid1(VALU_DEP_2)
	v_sub_nc_u32_e32 v6, 0, v8
	v_max_i32_e32 v4, v9, v4
	s_delay_alu instid0(VALU_DEP_2) | instskip(NEXT) | instid1(VALU_DEP_2)
	v_max_i32_e32 v10, v8, v6
	v_mul_u64_e32 v[12:13], s[60:61], v[4:5]
	v_mul_u64_e32 v[6:7], s[70:71], v[2:3]
	s_delay_alu instid0(VALU_DEP_3) | instskip(NEXT) | instid1(VALU_DEP_3)
	v_mul_u64_e32 v[14:15], s[68:69], v[10:11]
	v_mul_lo_u32 v5, v13, s82
	s_delay_alu instid0(VALU_DEP_3) | instskip(NEXT) | instid1(VALU_DEP_3)
	v_mul_lo_u32 v11, v7, s88
	v_mul_lo_u32 v6, v15, s87
	s_delay_alu instid0(VALU_DEP_1) | instskip(NEXT) | instid1(VALU_DEP_1)
	v_dual_sub_nc_u32 v4, v4, v5 :: v_dual_sub_nc_u32 v5, v10, v6
	v_cmp_le_u32_e32 vcc_lo, s82, v4
	s_delay_alu instid0(VALU_DEP_4) | instskip(SKIP_3) | instid1(VALU_DEP_3)
	v_sub_nc_u32_e32 v10, v2, v11
	v_subrev_nc_u32_e32 v2, s82, v4
	v_mul_lo_u32 v11, v9, s9
	v_subrev_nc_u32_e32 v6, s87, v5
	v_cndmask_b32_e32 v2, v4, v2, vcc_lo
	v_subrev_nc_u32_e32 v12, s88, v10
	v_cmp_le_u32_e32 vcc_lo, s87, v5
	v_cmp_le_u32_e64 s3, s88, v10
	s_delay_alu instid0(VALU_DEP_4) | instskip(NEXT) | instid1(VALU_DEP_2)
	v_cmp_le_u32_e64 s2, s82, v2
	v_dual_cndmask_b32 v6, v5, v6, vcc_lo :: v_dual_cndmask_b32 v5, v10, v12, s3
	v_sub_nc_u32_e32 v4, v0, v11
	s_and_not1_b32 vcc_lo, exec_lo, s8
	s_delay_alu instid0(VALU_DEP_2) | instskip(NEXT) | instid1(VALU_DEP_3)
	v_cmp_le_u32_e64 s1, s87, v6
	v_cmp_le_u32_e64 s0, s88, v5
	s_cbranch_vccnz .LBB87_5
; %bb.4:                                ;   in Loop: Header=BB87_3 Depth=1
	v_ashrrev_i32_e32 v5, 31, v4
	s_mov_b32 s34, 0
.LBB87_5:                               ;   in Loop: Header=BB87_3 Depth=1
	v_dual_add_nc_u32 v10, 1, v7 :: v_dual_ashrrev_i32 v9, 31, v9
	v_subrev_nc_u32_e32 v11, s87, v6
	s_and_not1_b32 vcc_lo, exec_lo, s34
	s_delay_alu instid0(VALU_DEP_2) | instskip(SKIP_1) | instid1(VALU_DEP_3)
	v_dual_cndmask_b32 v7, v7, v10, s3 :: v_dual_bitop2_b32 v1, s90, v1 bitop3:0x14
	v_subrev_nc_u32_e32 v10, s82, v2
	v_cndmask_b32_e64 v6, v6, v11, s1
	s_delay_alu instid0(VALU_DEP_2) | instskip(NEXT) | instid1(VALU_DEP_1)
	v_dual_cndmask_b32 v2, v2, v10, s2 :: v_dual_add_nc_u32 v12, 1, v7
	v_dual_ashrrev_i32 v10, 31, v8 :: v_dual_bitop2_b32 v2, v2, v9 bitop3:0x14
	s_delay_alu instid0(VALU_DEP_2) | instskip(NEXT) | instid1(VALU_DEP_1)
	v_cndmask_b32_e64 v7, v7, v12, s0
	v_xor_b32_e32 v12, v7, v1
	s_delay_alu instid0(VALU_DEP_3) | instskip(SKIP_1) | instid1(VALU_DEP_3)
	v_xor_b32_e32 v11, v6, v10
	v_mov_b64_e32 v[6:7], 0
	v_sub_nc_u32_e32 v12, v12, v1
	s_delay_alu instid0(VALU_DEP_3)
	v_dual_sub_nc_u32 v8, v2, v9 :: v_dual_sub_nc_u32 v10, v11, v10
	s_cbranch_vccnz .LBB87_19
; %bb.6:                                ;   in Loop: Header=BB87_3 Depth=1
	v_ashrrev_i32_e32 v5, 31, v4
	s_delay_alu instid0(VALU_DEP_3) | instskip(NEXT) | instid1(VALU_DEP_3)
	v_mul_lo_u32 v1, v12, s16
	v_mul_lo_u32 v9, v10, s17
	v_mad_u32 v11, v8, s18, s29
	v_mov_b64_e32 v[6:7], 0
	v_mul_u64_e32 v[14:15], s[36:37], v[4:5]
	s_mov_b32 s34, 0
	s_mov_b64 s[2:3], s[38:39]
	s_delay_alu instid0(VALU_DEP_1)
	v_lshl_add_u64 v[14:15], v[14:15], 2, s[20:21]
	s_branch .LBB87_8
.LBB87_7:                               ;   in Loop: Header=BB87_8 Depth=2
	s_add_co_i32 s34, s34, 1
	s_add_nc_u64 s[2:3], s[2:3], s[58:59]
	s_cmp_eq_u32 s34, s7
	s_cbranch_scc1 .LBB87_19
.LBB87_8:                               ;   Parent Loop BB87_3 Depth=1
                                        ; =>  This Loop Header: Depth=2
                                        ;       Child Loop BB87_11 Depth 3
                                        ;         Child Loop BB87_14 Depth 4
                                        ;           Child Loop BB87_17 Depth 5
	s_and_not1_b32 vcc_lo, exec_lo, s78
	s_cbranch_vccnz .LBB87_7
; %bb.9:                                ;   in Loop: Header=BB87_8 Depth=2
	s_mul_u64 s[0:1], s[46:47], s[34:35]
	s_mov_b64 s[72:73], s[2:3]
	v_lshl_add_u64 v[16:17], s[0:1], 2, v[14:15]
	s_mov_b32 s1, 0
	s_branch .LBB87_11
.LBB87_10:                              ;   in Loop: Header=BB87_11 Depth=3
	s_add_co_i32 s1, s1, 1
	s_add_nc_u64 s[72:73], s[72:73], s[56:57]
	s_cmp_eq_u32 s1, s10
	s_cbranch_scc1 .LBB87_7
.LBB87_11:                              ;   Parent Loop BB87_3 Depth=1
                                        ;     Parent Loop BB87_8 Depth=2
                                        ; =>    This Loop Header: Depth=3
                                        ;         Child Loop BB87_14 Depth 4
                                        ;           Child Loop BB87_17 Depth 5
	s_and_not1_b32 vcc_lo, exec_lo, s79
	s_cbranch_vccnz .LBB87_10
; %bb.12:                               ;   in Loop: Header=BB87_11 Depth=3
	s_mul_i32 s0, s1, s13
	s_mov_b32 s92, 0
	s_sub_co_i32 s0, s0, s19
	s_mov_b64 s[74:75], s[72:73]
	v_add_nc_u32_e32 v2, s0, v1
	s_delay_alu instid0(VALU_DEP_1)
	v_mul_u64_e32 v[18:19], s[44:45], v[2:3]
	v_cmp_gt_i32_e32 vcc_lo, 0, v2
	v_cmp_le_i32_e64 s0, s4, v2
	s_or_b32 s93, vcc_lo, s0
	v_lshl_add_u64 v[18:19], v[18:19], 2, v[16:17]
	s_branch .LBB87_14
.LBB87_13:                              ;   in Loop: Header=BB87_14 Depth=4
	s_add_co_i32 s92, s92, 1
	s_add_nc_u64 s[74:75], s[74:75], s[66:67]
	s_cmp_eq_u32 s92, s11
	s_cbranch_scc1 .LBB87_10
.LBB87_14:                              ;   Parent Loop BB87_3 Depth=1
                                        ;     Parent Loop BB87_8 Depth=2
                                        ;       Parent Loop BB87_11 Depth=3
                                        ; =>      This Loop Header: Depth=4
                                        ;           Child Loop BB87_17 Depth 5
	s_and_not1_b32 vcc_lo, exec_lo, s80
	s_cbranch_vccnz .LBB87_13
; %bb.15:                               ;   in Loop: Header=BB87_14 Depth=4
	s_mul_i32 s0, s92, s14
	s_mov_b64 s[76:77], s[74:75]
	s_sub_co_i32 s0, s0, s28
	s_mov_b32 s95, s12
	v_add_nc_u32_e32 v2, s0, v9
	s_delay_alu instid0(VALU_DEP_1) | instskip(SKIP_4) | instid1(SALU_CYCLE_1)
	v_mul_u64_e32 v[20:21], s[42:43], v[2:3]
	v_cmp_gt_i32_e32 vcc_lo, 0, v2
	v_cmp_le_i32_e64 s0, s5, v2
	v_mov_b32_e32 v2, v11
	s_or_b32 s0, vcc_lo, s0
	s_or_b32 s94, s93, s0
	v_lshl_add_u64 v[20:21], v[20:21], 2, v[18:19]
	s_branch .LBB87_17
.LBB87_16:                              ;   in Loop: Header=BB87_17 Depth=5
	s_or_b32 exec_lo, exec_lo, s0
	v_add_nc_u32_e32 v2, s15, v2
	s_add_co_i32 s95, s95, -1
	s_add_nc_u64 s[76:77], s[76:77], s[64:65]
	s_cmp_eq_u32 s95, 0
	s_cbranch_scc1 .LBB87_13
.LBB87_17:                              ;   Parent Loop BB87_3 Depth=1
                                        ;     Parent Loop BB87_8 Depth=2
                                        ;       Parent Loop BB87_11 Depth=3
                                        ;         Parent Loop BB87_14 Depth=4
                                        ; =>        This Inner Loop Header: Depth=5
	v_cmp_gt_i32_e32 vcc_lo, 0, v2
	v_cmp_le_i32_e64 s0, s6, v2
	s_or_b32 s0, vcc_lo, s0
	s_delay_alu instid0(SALU_CYCLE_1) | instskip(NEXT) | instid1(SALU_CYCLE_1)
	s_nor_b32 s96, s94, s0
	s_and_saveexec_b32 s0, s96
	s_cbranch_execz .LBB87_16
; %bb.18:                               ;   in Loop: Header=BB87_17 Depth=5
	v_mul_u64_e32 v[22:23], s[40:41], v[2:3]
	s_load_b32 s96, s[76:77], 0x0
	s_wait_kmcnt 0x0
	v_cvt_f64_f32_e32 v[24:25], s96
	s_delay_alu instid0(VALU_DEP_2) | instskip(SKIP_4) | instid1(VALU_DEP_1)
	v_lshl_add_u64 v[22:23], v[22:23], 2, v[20:21]
	global_load_b32 v13, v[22:23], off
	s_wait_loadcnt 0x0
	s_wait_xcnt 0x0
	v_cvt_f64_f32_e32 v[22:23], v13
	v_fmac_f64_e32 v[6:7], v[22:23], v[24:25]
	s_branch .LBB87_16
.LBB87_19:                              ;   in Loop: Header=BB87_3 Depth=1
	s_delay_alu instid0(VALU_DEP_1) | instskip(NEXT) | instid1(VALU_DEP_2)
	v_dual_ashrrev_i32 v13, 31, v12 :: v_dual_ashrrev_i32 v11, 31, v10
	v_ashrrev_i32_e32 v9, 31, v8
	v_mul_u64_e32 v[4:5], s[48:49], v[4:5]
	s_and_not1_b32 vcc_lo, exec_lo, s86
	s_delay_alu instid0(VALU_DEP_3) | instskip(SKIP_2) | instid1(VALU_DEP_3)
	v_mul_u64_e32 v[12:13], s[54:55], v[12:13]
	v_mul_u64_e32 v[10:11], s[52:53], v[10:11]
	;; [unrolled: 1-line block ×3, first 2 shown]
	v_lshl_add_u64 v[12:13], v[12:13], 2, s[22:23]
	s_delay_alu instid0(VALU_DEP_1) | instskip(NEXT) | instid1(VALU_DEP_1)
	v_lshl_add_u64 v[10:11], v[10:11], 2, v[12:13]
	v_lshl_add_u64 v[8:9], v[8:9], 2, v[10:11]
	s_delay_alu instid0(VALU_DEP_1)
	v_lshl_add_u64 v[4:5], v[4:5], 2, v[8:9]
	s_cbranch_vccnz .LBB87_2
; %bb.20:                               ;   in Loop: Header=BB87_3 Depth=1
	global_load_b32 v1, v[4:5], off
	s_wait_loadcnt 0x0
	v_cvt_f64_f32_e32 v[8:9], v1
	s_delay_alu instid0(VALU_DEP_1) | instskip(NEXT) | instid1(VALU_DEP_1)
	v_mul_f64_e32 v[8:9], s[26:27], v[8:9]
	v_fmac_f64_e32 v[8:9], s[24:25], v[6:7]
	s_delay_alu instid0(VALU_DEP_1)
	v_mov_b64_e32 v[6:7], v[8:9]
	s_branch .LBB87_2
.LBB87_21:
	s_endpgm
	.section	.rodata,"a",@progbits
	.p2align	6, 0x0
	.amdhsa_kernel naive_conv_ab_nonpacked_wrw_ndhwc_float_double_float
		.amdhsa_group_segment_fixed_size 0
		.amdhsa_private_segment_fixed_size 0
		.amdhsa_kernarg_size 528
		.amdhsa_user_sgpr_count 2
		.amdhsa_user_sgpr_dispatch_ptr 0
		.amdhsa_user_sgpr_queue_ptr 0
		.amdhsa_user_sgpr_kernarg_segment_ptr 1
		.amdhsa_user_sgpr_dispatch_id 0
		.amdhsa_user_sgpr_kernarg_preload_length 0
		.amdhsa_user_sgpr_kernarg_preload_offset 0
		.amdhsa_user_sgpr_private_segment_size 0
		.amdhsa_wavefront_size32 1
		.amdhsa_uses_dynamic_stack 0
		.amdhsa_enable_private_segment 0
		.amdhsa_system_sgpr_workgroup_id_x 1
		.amdhsa_system_sgpr_workgroup_id_y 0
		.amdhsa_system_sgpr_workgroup_id_z 0
		.amdhsa_system_sgpr_workgroup_info 0
		.amdhsa_system_vgpr_workitem_id 0
		.amdhsa_next_free_vgpr 26
		.amdhsa_next_free_sgpr 97
		.amdhsa_named_barrier_count 0
		.amdhsa_reserve_vcc 1
		.amdhsa_float_round_mode_32 0
		.amdhsa_float_round_mode_16_64 0
		.amdhsa_float_denorm_mode_32 3
		.amdhsa_float_denorm_mode_16_64 3
		.amdhsa_fp16_overflow 0
		.amdhsa_memory_ordered 1
		.amdhsa_forward_progress 1
		.amdhsa_inst_pref_size 15
		.amdhsa_round_robin_scheduling 0
		.amdhsa_exception_fp_ieee_invalid_op 0
		.amdhsa_exception_fp_denorm_src 0
		.amdhsa_exception_fp_ieee_div_zero 0
		.amdhsa_exception_fp_ieee_overflow 0
		.amdhsa_exception_fp_ieee_underflow 0
		.amdhsa_exception_fp_ieee_inexact 0
		.amdhsa_exception_int_div_zero 0
	.end_amdhsa_kernel
	.text
.Lfunc_end87:
	.size	naive_conv_ab_nonpacked_wrw_ndhwc_float_double_float, .Lfunc_end87-naive_conv_ab_nonpacked_wrw_ndhwc_float_double_float
                                        ; -- End function
	.set naive_conv_ab_nonpacked_wrw_ndhwc_float_double_float.num_vgpr, 26
	.set naive_conv_ab_nonpacked_wrw_ndhwc_float_double_float.num_agpr, 0
	.set naive_conv_ab_nonpacked_wrw_ndhwc_float_double_float.numbered_sgpr, 97
	.set naive_conv_ab_nonpacked_wrw_ndhwc_float_double_float.num_named_barrier, 0
	.set naive_conv_ab_nonpacked_wrw_ndhwc_float_double_float.private_seg_size, 0
	.set naive_conv_ab_nonpacked_wrw_ndhwc_float_double_float.uses_vcc, 1
	.set naive_conv_ab_nonpacked_wrw_ndhwc_float_double_float.uses_flat_scratch, 0
	.set naive_conv_ab_nonpacked_wrw_ndhwc_float_double_float.has_dyn_sized_stack, 0
	.set naive_conv_ab_nonpacked_wrw_ndhwc_float_double_float.has_recursion, 0
	.set naive_conv_ab_nonpacked_wrw_ndhwc_float_double_float.has_indirect_call, 0
	.section	.AMDGPU.csdata,"",@progbits
; Kernel info:
; codeLenInByte = 1828
; TotalNumSgprs: 99
; NumVgprs: 26
; ScratchSize: 0
; MemoryBound: 0
; FloatMode: 240
; IeeeMode: 1
; LDSByteSize: 0 bytes/workgroup (compile time only)
; SGPRBlocks: 0
; VGPRBlocks: 1
; NumSGPRsForWavesPerEU: 99
; NumVGPRsForWavesPerEU: 26
; NamedBarCnt: 0
; Occupancy: 16
; WaveLimiterHint : 0
; COMPUTE_PGM_RSRC2:SCRATCH_EN: 0
; COMPUTE_PGM_RSRC2:USER_SGPR: 2
; COMPUTE_PGM_RSRC2:TRAP_HANDLER: 0
; COMPUTE_PGM_RSRC2:TGID_X_EN: 1
; COMPUTE_PGM_RSRC2:TGID_Y_EN: 0
; COMPUTE_PGM_RSRC2:TGID_Z_EN: 0
; COMPUTE_PGM_RSRC2:TIDIG_COMP_CNT: 0
	.text
	.protected	naive_conv_ab_packed_wrw_ndhwc_half_double_half ; -- Begin function naive_conv_ab_packed_wrw_ndhwc_half_double_half
	.globl	naive_conv_ab_packed_wrw_ndhwc_half_double_half
	.p2align	8
	.type	naive_conv_ab_packed_wrw_ndhwc_half_double_half,@function
naive_conv_ab_packed_wrw_ndhwc_half_double_half: ; @naive_conv_ab_packed_wrw_ndhwc_half_double_half
; %bb.0:
	s_clause 0x2
	s_load_b512 s[4:19], s[0:1], 0xb8
	s_load_b64 s[2:3], s[0:1], 0x108
	s_load_b128 s[28:31], s[0:1], 0xf8
	s_bfe_u32 s20, ttmp6, 0x4000c
	s_and_b32 s21, ttmp6, 15
	s_add_co_i32 s20, s20, 1
	s_getreg_b32 s22, hwreg(HW_REG_IB_STS2, 6, 4)
	s_mul_i32 s20, ttmp9, s20
	s_mov_b32 s35, 0
	s_add_co_i32 s21, s21, s20
	s_cmp_eq_u32 s22, 0
	s_cselect_b32 s38, ttmp9, s21
	s_mov_b32 s21, exec_lo
	s_wait_kmcnt 0x0
	s_abs_i32 s37, s8
	s_mul_i32 s52, s2, s9
	s_cvt_f32_u32 s20, s37
	s_mul_i32 s56, s52, s31
	s_delay_alu instid0(SALU_CYCLE_1) | instskip(NEXT) | instid1(SALU_CYCLE_1)
	s_mul_i32 s33, s56, s30
	v_rcp_iflag_f32_e32 v1, s20
	v_nop
	s_delay_alu instid0(TRANS32_DEP_1)
	v_readfirstlane_b32 s20, v1
	v_cmpx_gt_i32_e64 s33, v0
	s_cbranch_execz .LBB88_23
; %bb.1:
	s_mul_f32 s34, s20, 0x4f7ffffe
	s_mov_b32 s41, s35
	s_ashr_i32 s39, s38, 31
	s_ashr_i32 s45, s8, 31
	s_cvt_u32_f32 s36, s34
	s_sub_co_i32 s34, 0, s37
	s_xor_b32 s39, s39, s45
	s_load_b256 s[20:27], s[0:1], 0x0
	s_mul_i32 s40, s34, s36
	s_abs_i32 s34, s38
	s_mul_hi_u32 s40, s36, s40
	s_load_b64 s[42:43], s[0:1], 0x20
	s_add_co_i32 s40, s36, s40
	s_mov_b32 s36, s9
	s_mul_u64 s[40:41], s[34:35], s[40:41]
	s_mov_b32 s44, s8
	s_mul_i32 s40, s41, s37
	s_mov_b32 s60, s12
	s_sub_co_i32 s34, s34, s40
	s_add_co_i32 s40, s41, 1
	s_sub_co_i32 s46, s34, s37
	s_cmp_ge_u32 s34, s37
	s_mov_b32 s58, s10
	s_cselect_b32 s40, s40, s41
	s_cselect_b32 s34, s46, s34
	s_add_co_i32 s41, s40, 1
	s_cmp_ge_u32 s34, s37
	s_mov_b32 s46, s30
	s_cselect_b32 s34, s41, s40
	s_ashr_i32 s37, s9, 31
	s_xor_b32 s34, s34, s39
	s_ashr_i32 s47, s30, 31
	s_sub_co_i32 s40, s34, s39
	s_ashr_i32 s39, s31, 31
	s_mul_i32 s30, s40, s8
	s_ashr_i32 s41, s40, 31
	s_sub_co_i32 s48, s38, s30
	s_mov_b32 s38, s31
	s_mul_u64 s[46:47], s[46:47], s[36:37]
	s_mul_u64 s[50:51], s[40:41], s[36:37]
	;; [unrolled: 1-line block ×3, first 2 shown]
	s_ashr_i32 s41, s2, 31
	s_mov_b32 s40, s2
	s_ashr_i32 s49, s48, 31
	s_mul_u64 s[46:47], s[46:47], s[38:39]
	s_add_nc_u64 s[54:55], s[44:45], s[48:49]
	s_mul_u64 s[46:47], s[46:47], s[40:41]
	s_wait_kmcnt 0x0
	v_cmp_neq_f64_e64 s30, s[24:25], 1.0
	s_mul_u64 s[46:47], s[46:47], s[54:55]
	v_cmp_neq_f64_e64 s34, s[26:27], 0
	s_lshl_b64 s[50:51], s[50:51], 1
	s_lshl_b64 s[46:47], s[46:47], 1
	s_lshl_b64 s[44:45], s[44:45], 1
	s_lshl_b64 s[48:49], s[48:49], 1
	s_cmp_lt_i32 s7, 1
	s_add_nc_u64 s[20:21], s[20:21], s[50:51]
	s_cselect_b32 s39, -1, 0
	s_cmp_gt_i32 s10, 0
	s_load_b32 s50, s[0:1], 0x11c
	s_cselect_b32 s74, -1, 0
	s_cmp_gt_i32 s11, 0
	s_wait_xcnt 0x0
	s_add_nc_u64 s[0:1], s[42:43], s[44:45]
	s_cselect_b32 s75, -1, 0
	s_cmp_gt_i32 s12, 0
	s_add_nc_u64 s[42:43], s[0:1], s[48:49]
	s_cselect_b32 s76, -1, 0
	s_abs_i32 s77, s9
	s_abs_i32 s78, s2
	s_cvt_f32_u32 s1, s77
	s_cvt_f32_u32 s51, s78
	s_abs_i32 s80, s52
	s_abs_i32 s82, s31
	v_rcp_iflag_f32_e32 v1, s1
	s_cvt_f32_u32 s31, s82
	s_abs_i32 s83, s56
	s_ashr_i32 s84, s52, 31
	s_cvt_f32_u32 s54, s83
	s_mul_i32 s0, s3, s8
	s_wait_kmcnt 0x0
	s_and_b32 s81, s50, 0xffff
	v_nop
	v_readfirstlane_b32 s1, v1
	v_rcp_iflag_f32_e32 v1, s51
	s_or_b32 s79, s30, s34
	s_sub_co_i32 s34, 0, s77
	s_ashr_i32 s61, s12, 31
	s_mul_f32 s53, s1, 0x4f7ffffe
	s_ashr_i32 s1, s0, 31
	s_mul_i32 s44, s3, s9
	v_nop
	v_readfirstlane_b32 s51, v1
	s_cvt_u32_f32 s30, s53
	s_cvt_f32_u32 s53, s80
	s_ashr_i32 s3, s11, 31
	s_mov_b32 s2, s11
	s_mul_i32 s34, s34, s30
	v_rcp_iflag_f32_e32 v1, s53
	s_mul_f32 s50, s51, 0x4f7ffffe
	s_mul_hi_u32 s34, s30, s34
	s_sub_co_i32 s57, 0, s83
	s_add_co_i32 s30, s30, s34
	s_cvt_u32_f32 s34, s50
	s_sub_co_i32 s50, 0, s78
	v_nop
	v_readfirstlane_b32 s51, v1
	v_rcp_iflag_f32_e32 v1, s31
	s_mul_i32 s50, s50, s34
	s_mul_u64 s[62:63], s[60:61], s[0:1]
	s_mul_hi_u32 s50, s34, s50
	s_mul_f32 s53, s51, 0x4f7ffffe
	s_add_co_i32 s50, s34, s50
	s_ashr_i32 s59, s10, 31
	v_nop
	v_readfirstlane_b32 s55, v1
	v_rcp_iflag_f32_e32 v1, s54
	s_cvt_u32_f32 s34, s53
	s_sub_co_i32 s54, 0, s80
	s_mul_u64 s[2:3], s[62:63], s[2:3]
	s_mul_f32 s53, s55, 0x4f7ffffe
	s_mul_i32 s54, s54, s34
	v_mov_b32_e32 v3, 0
	s_mul_hi_u32 s52, s34, s54
	s_cvt_u32_f32 s55, s53
	v_readfirstlane_b32 s53, v1
	s_add_co_i32 s52, s34, s52
	s_sub_co_i32 s54, 0, s82
	v_mov_b32_e32 v1, 0x7e00
	s_mul_i32 s54, s54, s55
	s_mul_f32 s34, s53, 0x4f7ffffe
	s_mul_hi_u32 s54, s55, s54
	s_ashr_i32 s85, s56, 31
	s_mul_u64 s[58:59], s[2:3], s[58:59]
	s_cvt_u32_f32 s34, s34
	s_add_nc_u64 s[22:23], s[22:23], s[46:47]
	s_ashr_i32 s9, s4, 31
	s_mov_b32 s8, s4
	s_mul_i32 s57, s57, s34
	s_ashr_i32 s47, s5, 31
	s_mul_hi_u32 s56, s34, s57
	s_mov_b32 s46, s5
	s_ashr_i32 s49, s6, 31
	s_mov_b32 s48, s6
	s_ashr_i32 s45, s44, 31
	s_mov_b32 s31, s35
	s_mov_b32 s51, s35
	;; [unrolled: 1-line block ×3, first 2 shown]
	s_add_co_i32 s54, s55, s54
	s_mov_b32 s55, s35
	s_add_co_i32 s56, s34, s56
	s_mov_b32 s57, s35
	s_lshl_b64 s[58:59], s[58:59], 1
	s_lshl_b64 s[60:61], s[2:3], 1
	s_lshl_b64 s[62:63], s[62:63], 1
	s_lshl_b64 s[64:65], s[0:1], 1
	s_sub_co_i32 s29, 0, s29
	s_mov_b32 s86, 0
	s_branch .LBB88_3
.LBB88_2:                               ;   in Loop: Header=BB88_3 Depth=1
	v_add_nc_u32_e32 v0, s81, v0
	s_delay_alu instid0(VALU_DEP_1)
	v_cmp_le_i32_e32 vcc_lo, s33, v0
	s_or_b32 s86, vcc_lo, s86
	s_wait_xcnt 0x0
	s_and_not1_b32 exec_lo, exec_lo, s86
	s_cbranch_execz .LBB88_23
.LBB88_3:                               ; =>This Loop Header: Depth=1
                                        ;     Child Loop BB88_8 Depth 2
                                        ;       Child Loop BB88_11 Depth 3
                                        ;         Child Loop BB88_14 Depth 4
                                        ;           Child Loop BB88_17 Depth 5
	v_sub_nc_u32_e32 v2, 0, v0
	s_mov_b32 s34, -1
	v_dual_mov_b32 v13, v3 :: v_dual_ashrrev_i32 v8, 31, v0
	s_delay_alu instid0(VALU_DEP_2) | instskip(NEXT) | instid1(VALU_DEP_1)
	v_max_i32_e32 v2, v0, v2
	v_mul_u64_e32 v[4:5], s[30:31], v[2:3]
	v_mul_u64_e32 v[6:7], s[52:53], v[2:3]
	s_delay_alu instid0(VALU_DEP_2) | instskip(NEXT) | instid1(VALU_DEP_2)
	v_mul_lo_u32 v4, v5, s77
	v_mul_lo_u32 v6, v7, s80
	s_delay_alu instid0(VALU_DEP_2) | instskip(NEXT) | instid1(VALU_DEP_2)
	v_dual_add_nc_u32 v9, 1, v5 :: v_dual_sub_nc_u32 v4, v2, v4
	v_sub_nc_u32_e32 v6, v2, v6
	s_delay_alu instid0(VALU_DEP_2) | instskip(SKIP_1) | instid1(VALU_DEP_3)
	v_cmp_le_u32_e32 vcc_lo, s77, v4
	v_add_nc_u32_e32 v10, 1, v7
	v_subrev_nc_u32_e32 v11, s80, v6
	v_cmp_le_u32_e64 s0, s80, v6
	v_cndmask_b32_e32 v5, v5, v9, vcc_lo
	v_subrev_nc_u32_e32 v9, s77, v4
	s_delay_alu instid0(VALU_DEP_3) | instskip(NEXT) | instid1(VALU_DEP_2)
	v_dual_cndmask_b32 v7, v7, v10, s0 :: v_dual_bitop2_b32 v10, s37, v8 bitop3:0x14
	v_dual_cndmask_b32 v6, v6, v11, s0 :: v_dual_cndmask_b32 v4, v4, v9, vcc_lo
	s_delay_alu instid0(VALU_DEP_2) | instskip(NEXT) | instid1(VALU_DEP_2)
	v_dual_add_nc_u32 v9, 1, v5 :: v_dual_add_nc_u32 v11, 1, v7
	v_cmp_le_u32_e32 vcc_lo, s77, v4
	s_delay_alu instid0(VALU_DEP_2) | instskip(NEXT) | instid1(VALU_DEP_4)
	v_dual_cndmask_b32 v4, v5, v9, vcc_lo :: v_dual_bitop2_b32 v12, s84, v8 bitop3:0x14
	v_cmp_le_u32_e32 vcc_lo, s80, v6
	s_delay_alu instid0(VALU_DEP_2) | instskip(NEXT) | instid1(VALU_DEP_1)
	v_dual_cndmask_b32 v5, v7, v11, vcc_lo :: v_dual_bitop2_b32 v4, v4, v10 bitop3:0x14
	v_dual_mov_b32 v7, v3 :: v_dual_sub_nc_u32 v10, v4, v10
	s_delay_alu instid0(VALU_DEP_1) | instskip(NEXT) | instid1(VALU_DEP_1)
	v_dual_sub_nc_u32 v4, 0, v10 :: v_dual_bitop2_b32 v5, v5, v12 bitop3:0x14
	v_sub_nc_u32_e32 v9, v5, v12
	s_delay_alu instid0(VALU_DEP_1) | instskip(NEXT) | instid1(VALU_DEP_1)
	v_dual_sub_nc_u32 v5, 0, v9 :: v_dual_max_i32 v6, v10, v4
	v_mul_u64_e32 v[14:15], s[50:51], v[6:7]
	s_delay_alu instid0(VALU_DEP_2) | instskip(SKIP_1) | instid1(VALU_DEP_3)
	v_max_i32_e32 v12, v9, v5
	v_mul_u64_e32 v[4:5], s[56:57], v[2:3]
	v_mul_lo_u32 v4, v15, s78
	s_delay_alu instid0(VALU_DEP_2) | instskip(NEXT) | instid1(VALU_DEP_2)
	v_mul_lo_u32 v11, v5, s83
	v_sub_nc_u32_e32 v4, v6, v4
	v_mul_u64_e32 v[16:17], s[54:55], v[12:13]
	s_delay_alu instid0(VALU_DEP_2) | instskip(NEXT) | instid1(VALU_DEP_2)
	v_cmp_le_u32_e32 vcc_lo, s78, v4
	v_mul_lo_u32 v7, v17, s82
	s_delay_alu instid0(VALU_DEP_1) | instskip(SKIP_3) | instid1(VALU_DEP_2)
	v_sub_nc_u32_e32 v6, v12, v7
	v_sub_nc_u32_e32 v7, v2, v11
	v_subrev_nc_u32_e32 v2, s78, v4
	v_mul_lo_u32 v11, v10, s36
	v_cndmask_b32_e32 v2, v4, v2, vcc_lo
	s_delay_alu instid0(VALU_DEP_4) | instskip(SKIP_1) | instid1(VALU_DEP_3)
	v_subrev_nc_u32_e32 v13, s83, v7
	v_cmp_le_u32_e64 s3, s83, v7
	v_cmp_le_u32_e64 s2, s78, v2
	s_delay_alu instid0(VALU_DEP_2) | instskip(SKIP_2) | instid1(VALU_DEP_3)
	v_cndmask_b32_e64 v7, v7, v13, s3
	v_subrev_nc_u32_e32 v12, s82, v6
	v_cmp_le_u32_e32 vcc_lo, s82, v6
	v_cmp_le_u32_e64 s0, s83, v7
	s_delay_alu instid0(VALU_DEP_3) | instskip(SKIP_1) | instid1(VALU_DEP_1)
	v_dual_cndmask_b32 v4, v6, v12, vcc_lo :: v_dual_sub_nc_u32 v6, v0, v11
	s_and_not1_b32 vcc_lo, exec_lo, s39
	v_cmp_le_u32_e64 s1, s82, v4
	s_cbranch_vccnz .LBB88_5
; %bb.4:                                ;   in Loop: Header=BB88_3 Depth=1
	v_ashrrev_i32_e32 v7, 31, v6
	s_mov_b32 s34, 0
.LBB88_5:                               ;   in Loop: Header=BB88_3 Depth=1
	v_dual_add_nc_u32 v11, 1, v5 :: v_dual_ashrrev_i32 v10, 31, v10
	v_subrev_nc_u32_e32 v12, s82, v4
	v_ashrrev_i32_e32 v9, 31, v9
	s_and_not1_b32 vcc_lo, exec_lo, s34
	s_delay_alu instid0(VALU_DEP_3) | instskip(SKIP_1) | instid1(VALU_DEP_1)
	v_cndmask_b32_e64 v5, v5, v11, s3
	v_subrev_nc_u32_e32 v11, s78, v2
	v_dual_cndmask_b32 v4, v4, v12, s1 :: v_dual_cndmask_b32 v2, v2, v11, s2
	s_delay_alu instid0(VALU_DEP_3) | instskip(NEXT) | instid1(VALU_DEP_1)
	v_dual_add_nc_u32 v13, 1, v5 :: v_dual_bitop2_b32 v11, s85, v8 bitop3:0x14
	v_dual_cndmask_b32 v5, v5, v13, s0 :: v_dual_bitop2_b32 v2, v2, v10 bitop3:0x14
	s_delay_alu instid0(VALU_DEP_1) | instskip(NEXT) | instid1(VALU_DEP_1)
	v_dual_sub_nc_u32 v8, v2, v10 :: v_dual_bitop2_b32 v12, v4, v9 bitop3:0x14
	v_dual_sub_nc_u32 v10, v12, v9 :: v_dual_bitop2_b32 v13, v5, v11 bitop3:0x14
	v_mov_b64_e32 v[4:5], 0
	s_delay_alu instid0(VALU_DEP_2)
	v_sub_nc_u32_e32 v9, v13, v11
	s_cbranch_vccnz .LBB88_19
; %bb.6:                                ;   in Loop: Header=BB88_3 Depth=1
	s_delay_alu instid0(VALU_DEP_1)
	v_mul_lo_u32 v11, v9, s16
	v_mul_lo_u32 v18, v10, s17
	v_mad_u32 v19, v8, s18, s29
	v_ashrrev_i32_e32 v7, 31, v6
	v_mov_b64_e32 v[4:5], 0
	s_mov_b32 s34, 0
	s_mov_b64 s[2:3], s[42:43]
	s_delay_alu instid0(VALU_DEP_2)
	v_lshl_add_u64 v[12:13], v[6:7], 1, s[20:21]
	s_branch .LBB88_8
.LBB88_7:                               ;   in Loop: Header=BB88_8 Depth=2
	s_add_co_i32 s34, s34, 1
	s_add_nc_u64 s[2:3], s[2:3], s[58:59]
	s_cmp_eq_u32 s34, s7
	s_cbranch_scc1 .LBB88_19
.LBB88_8:                               ;   Parent Loop BB88_3 Depth=1
                                        ; =>  This Loop Header: Depth=2
                                        ;       Child Loop BB88_11 Depth 3
                                        ;         Child Loop BB88_14 Depth 4
                                        ;           Child Loop BB88_17 Depth 5
	s_and_not1_b32 vcc_lo, exec_lo, s74
	s_cbranch_vccnz .LBB88_7
; %bb.9:                                ;   in Loop: Header=BB88_8 Depth=2
	s_mul_u64 s[66:67], s[34:35], s[8:9]
	s_mov_b32 s1, 0
	s_mov_b64 s[68:69], s[2:3]
	s_branch .LBB88_11
.LBB88_10:                              ;   in Loop: Header=BB88_11 Depth=3
	s_add_co_i32 s1, s1, 1
	s_add_nc_u64 s[68:69], s[68:69], s[60:61]
	s_cmp_eq_u32 s1, s10
	s_cbranch_scc1 .LBB88_7
.LBB88_11:                              ;   Parent Loop BB88_3 Depth=1
                                        ;     Parent Loop BB88_8 Depth=2
                                        ; =>    This Loop Header: Depth=3
                                        ;         Child Loop BB88_14 Depth 4
                                        ;           Child Loop BB88_17 Depth 5
	s_and_not1_b32 vcc_lo, exec_lo, s75
	s_cbranch_vccnz .LBB88_10
; %bb.12:                               ;   in Loop: Header=BB88_11 Depth=3
	s_mul_i32 s0, s1, s13
	s_mov_b32 s87, 0
	s_sub_co_i32 s0, s0, s19
	s_mov_b64 s[70:71], s[68:69]
	v_add_nc_u32_e32 v2, s0, v11
	s_delay_alu instid0(VALU_DEP_1)
	v_add_nc_u64_e32 v[14:15], s[66:67], v[2:3]
	v_cmp_gt_i32_e32 vcc_lo, 0, v2
	v_cmp_le_i32_e64 s0, s4, v2
	s_or_b32 s88, vcc_lo, s0
	v_mul_u64_e32 v[14:15], s[46:47], v[14:15]
	s_branch .LBB88_14
.LBB88_13:                              ;   in Loop: Header=BB88_14 Depth=4
	s_add_co_i32 s87, s87, 1
	s_add_nc_u64 s[70:71], s[70:71], s[62:63]
	s_cmp_eq_u32 s87, s11
	s_cbranch_scc1 .LBB88_10
.LBB88_14:                              ;   Parent Loop BB88_3 Depth=1
                                        ;     Parent Loop BB88_8 Depth=2
                                        ;       Parent Loop BB88_11 Depth=3
                                        ; =>      This Loop Header: Depth=4
                                        ;           Child Loop BB88_17 Depth 5
	s_and_not1_b32 vcc_lo, exec_lo, s76
	s_cbranch_vccnz .LBB88_13
; %bb.15:                               ;   in Loop: Header=BB88_14 Depth=4
	s_mul_i32 s0, s87, s14
	s_mov_b64 s[72:73], s[70:71]
	s_sub_co_i32 s0, s0, s28
	s_mov_b32 s90, s12
	v_add_nc_u32_e32 v2, s0, v18
	s_delay_alu instid0(VALU_DEP_1)
	v_add_nc_u64_e32 v[16:17], v[14:15], v[2:3]
	v_cmp_gt_i32_e32 vcc_lo, 0, v2
	v_cmp_le_i32_e64 s0, s5, v2
	v_mov_b32_e32 v2, v19
	s_or_b32 s0, vcc_lo, s0
	v_mul_u64_e32 v[16:17], s[48:49], v[16:17]
	s_or_b32 s89, s88, s0
	s_branch .LBB88_17
.LBB88_16:                              ;   in Loop: Header=BB88_17 Depth=5
	s_wait_xcnt 0x0
	s_or_b32 exec_lo, exec_lo, s0
	v_add_nc_u32_e32 v2, s15, v2
	s_add_co_i32 s90, s90, -1
	s_add_nc_u64 s[72:73], s[72:73], s[64:65]
	s_cmp_eq_u32 s90, 0
	s_cbranch_scc1 .LBB88_13
.LBB88_17:                              ;   Parent Loop BB88_3 Depth=1
                                        ;     Parent Loop BB88_8 Depth=2
                                        ;       Parent Loop BB88_11 Depth=3
                                        ;         Parent Loop BB88_14 Depth=4
                                        ; =>        This Inner Loop Header: Depth=5
	v_cmp_gt_i32_e32 vcc_lo, 0, v2
	v_cmp_le_i32_e64 s0, s6, v2
	s_or_b32 s0, vcc_lo, s0
	s_delay_alu instid0(SALU_CYCLE_1) | instskip(NEXT) | instid1(SALU_CYCLE_1)
	s_nor_b32 s91, s89, s0
	s_and_saveexec_b32 s0, s91
	s_cbranch_execz .LBB88_16
; %bb.18:                               ;   in Loop: Header=BB88_17 Depth=5
	v_add_nc_u64_e32 v[20:21], v[16:17], v[2:3]
	s_delay_alu instid0(VALU_DEP_1) | instskip(NEXT) | instid1(VALU_DEP_1)
	v_mul_u64_e32 v[20:21], s[44:45], v[20:21]
	v_lshl_add_u64 v[20:21], v[20:21], 1, v[12:13]
	global_load_u16 v20, v[20:21], off
	global_load_u16 v21, v3, s[72:73]
	s_wait_loadcnt 0x1
	v_cvt_f32_f16_e32 v20, v20
	s_wait_loadcnt 0x0
	v_cvt_f32_f16_e32 v22, v21
	s_delay_alu instid0(VALU_DEP_2) | instskip(NEXT) | instid1(VALU_DEP_2)
	v_cvt_f64_f32_e32 v[20:21], v20
	v_cvt_f64_f32_e32 v[22:23], v22
	s_delay_alu instid0(VALU_DEP_1)
	v_fmac_f64_e32 v[4:5], v[20:21], v[22:23]
	s_branch .LBB88_16
.LBB88_19:                              ;   in Loop: Header=BB88_3 Depth=1
	s_delay_alu instid0(VALU_DEP_3) | instskip(SKIP_2) | instid1(VALU_DEP_1)
	v_ashrrev_i32_e32 v11, 31, v10
	s_and_b32 vcc_lo, exec_lo, s79
	s_mov_b32 s0, -1
	v_mad_nc_i64_i32 v[10:11], v9, s38, v[10:11]
	v_ashrrev_i32_e32 v9, 31, v8
	s_delay_alu instid0(VALU_DEP_1) | instskip(NEXT) | instid1(VALU_DEP_1)
	v_mad_nc_u64_u32 v[8:9], v10, s40, v[8:9]
	v_mad_u32 v2, v11, s40, v9
	s_delay_alu instid0(VALU_DEP_2) | instskip(NEXT) | instid1(VALU_DEP_2)
	v_mad_nc_u64_u32 v[6:7], v8, s36, v[6:7]
	v_mad_u32 v2, v10, s41, v2
	s_delay_alu instid0(VALU_DEP_1) | instskip(NEXT) | instid1(VALU_DEP_1)
	v_mad_u32 v2, v2, s36, v7
	v_mad_u32 v7, v8, s37, v2
	s_cbranch_vccz .LBB88_21
; %bb.20:                               ;   in Loop: Header=BB88_3 Depth=1
	s_delay_alu instid0(VALU_DEP_1) | instskip(SKIP_4) | instid1(VALU_DEP_1)
	v_lshl_add_u64 v[8:9], v[6:7], 1, s[22:23]
	s_mov_b32 s0, 0
	global_load_u16 v2, v[8:9], off
	s_wait_loadcnt 0x0
	v_cvt_f32_f16_e32 v2, v2
	v_cvt_f64_f32_e32 v[10:11], v2
	s_delay_alu instid0(VALU_DEP_1) | instskip(NEXT) | instid1(VALU_DEP_1)
	v_mul_f64_e32 v[10:11], s[26:27], v[10:11]
	v_fmac_f64_e32 v[10:11], s[24:25], v[4:5]
	s_delay_alu instid0(VALU_DEP_1) | instskip(SKIP_2) | instid1(VALU_DEP_3)
	v_and_or_b32 v2, 0x1ff, v11, v10
	v_lshrrev_b32_e32 v10, 8, v11
	v_bfe_u32 v12, v11, 20, 11
	v_cmp_ne_u32_e32 vcc_lo, 0, v2
	s_delay_alu instid0(VALU_DEP_2) | instskip(SKIP_2) | instid1(VALU_DEP_1)
	v_sub_nc_u32_e32 v13, 0x3f1, v12
	v_add_nc_u32_e32 v12, 0xfffffc10, v12
	v_cndmask_b32_e64 v2, 0, 1, vcc_lo
	v_and_or_b32 v2, 0xffe, v10, v2
	s_delay_alu instid0(VALU_DEP_4) | instskip(NEXT) | instid1(VALU_DEP_2)
	v_med3_i32 v10, v13, 0, 13
	v_or_b32_e32 v13, 0x1000, v2
	s_delay_alu instid0(VALU_DEP_1) | instskip(NEXT) | instid1(VALU_DEP_1)
	v_lshrrev_b32_e32 v14, v10, v13
	v_lshlrev_b32_e32 v10, v10, v14
	s_delay_alu instid0(VALU_DEP_1) | instskip(SKIP_3) | instid1(VALU_DEP_2)
	v_cmp_ne_u32_e32 vcc_lo, v10, v13
	v_lshl_or_b32 v13, v12, 12, v2
	v_cndmask_b32_e64 v10, 0, 1, vcc_lo
	v_cmp_gt_i32_e32 vcc_lo, 1, v12
	v_or_b32_e32 v10, v14, v10
	s_delay_alu instid0(VALU_DEP_1) | instskip(NEXT) | instid1(VALU_DEP_1)
	v_cndmask_b32_e32 v10, v13, v10, vcc_lo
	v_dual_lshrrev_b32 v10, 2, v10 :: v_dual_bitop2_b32 v13, 7, v10 bitop3:0x40
	s_delay_alu instid0(VALU_DEP_1) | instskip(SKIP_4) | instid1(VALU_DEP_2)
	v_cmp_lt_i32_e32 vcc_lo, 5, v13
	v_cndmask_b32_e64 v14, 0, 1, vcc_lo
	v_cmp_eq_u32_e32 vcc_lo, 3, v13
	v_cndmask_b32_e64 v13, 0, 1, vcc_lo
	v_cmp_ne_u32_e32 vcc_lo, 0, v2
	v_or_b32_e32 v13, v13, v14
	v_cndmask_b32_e32 v2, 0x7c00, v1, vcc_lo
	v_cmp_gt_i32_e32 vcc_lo, 31, v12
	s_delay_alu instid0(VALU_DEP_3) | instskip(NEXT) | instid1(VALU_DEP_1)
	v_add_nc_u32_e32 v10, v10, v13
	v_cndmask_b32_e32 v10, 0x7c00, v10, vcc_lo
	v_cmp_eq_u32_e32 vcc_lo, 0x40f, v12
	s_delay_alu instid0(VALU_DEP_2) | instskip(NEXT) | instid1(VALU_DEP_1)
	v_dual_cndmask_b32 v2, v10, v2, vcc_lo :: v_dual_lshrrev_b32 v10, 16, v11
	v_and_or_b32 v2, 0x8000, v10, v2
	global_store_b16 v[8:9], v2, off
.LBB88_21:                              ;   in Loop: Header=BB88_3 Depth=1
	s_and_not1_b32 vcc_lo, exec_lo, s0
	s_cbranch_vccnz .LBB88_2
; %bb.22:                               ;   in Loop: Header=BB88_3 Depth=1
	s_wait_xcnt 0x0
	v_and_or_b32 v2, 0x1ff, v5, v4
	v_lshrrev_b32_e32 v4, 8, v5
	v_bfe_u32 v8, v5, 20, 11
	v_lshrrev_b32_e32 v5, 16, v5
	s_delay_alu instid0(VALU_DEP_4) | instskip(NEXT) | instid1(VALU_DEP_3)
	v_cmp_ne_u32_e32 vcc_lo, 0, v2
	v_sub_nc_u32_e32 v9, 0x3f1, v8
	v_add_nc_u32_e32 v8, 0xfffffc10, v8
	v_cndmask_b32_e64 v2, 0, 1, vcc_lo
	s_delay_alu instid0(VALU_DEP_1) | instskip(NEXT) | instid1(VALU_DEP_4)
	v_and_or_b32 v2, 0xffe, v4, v2
	v_med3_i32 v4, v9, 0, 13
	s_delay_alu instid0(VALU_DEP_2) | instskip(NEXT) | instid1(VALU_DEP_1)
	v_or_b32_e32 v9, 0x1000, v2
	v_lshrrev_b32_e32 v10, v4, v9
	s_delay_alu instid0(VALU_DEP_1) | instskip(NEXT) | instid1(VALU_DEP_1)
	v_lshlrev_b32_e32 v4, v4, v10
	v_cmp_ne_u32_e32 vcc_lo, v4, v9
	v_lshl_or_b32 v9, v8, 12, v2
	v_cndmask_b32_e64 v4, 0, 1, vcc_lo
	v_cmp_gt_i32_e32 vcc_lo, 1, v8
	s_delay_alu instid0(VALU_DEP_2) | instskip(NEXT) | instid1(VALU_DEP_1)
	v_or_b32_e32 v4, v10, v4
	v_cndmask_b32_e32 v4, v9, v4, vcc_lo
	s_delay_alu instid0(VALU_DEP_1) | instskip(NEXT) | instid1(VALU_DEP_1)
	v_dual_lshrrev_b32 v4, 2, v4 :: v_dual_bitop2_b32 v9, 7, v4 bitop3:0x40
	v_cmp_lt_i32_e32 vcc_lo, 5, v9
	v_cndmask_b32_e64 v10, 0, 1, vcc_lo
	v_cmp_eq_u32_e32 vcc_lo, 3, v9
	v_cndmask_b32_e64 v9, 0, 1, vcc_lo
	v_cmp_ne_u32_e32 vcc_lo, 0, v2
	s_delay_alu instid0(VALU_DEP_2) | instskip(SKIP_2) | instid1(VALU_DEP_3)
	v_or_b32_e32 v9, v9, v10
	v_cndmask_b32_e32 v2, 0x7c00, v1, vcc_lo
	v_cmp_gt_i32_e32 vcc_lo, 31, v8
	v_add_nc_u32_e32 v4, v4, v9
	s_delay_alu instid0(VALU_DEP_1) | instskip(SKIP_1) | instid1(VALU_DEP_2)
	v_cndmask_b32_e32 v4, 0x7c00, v4, vcc_lo
	v_cmp_eq_u32_e32 vcc_lo, 0x40f, v8
	v_cndmask_b32_e32 v2, v4, v2, vcc_lo
	s_delay_alu instid0(VALU_DEP_1)
	v_and_or_b32 v2, 0x8000, v5, v2
	v_lshl_add_u64 v[4:5], v[6:7], 1, s[22:23]
	global_store_b16 v[4:5], v2, off
	s_branch .LBB88_2
.LBB88_23:
	s_endpgm
	.section	.rodata,"a",@progbits
	.p2align	6, 0x0
	.amdhsa_kernel naive_conv_ab_packed_wrw_ndhwc_half_double_half
		.amdhsa_group_segment_fixed_size 0
		.amdhsa_private_segment_fixed_size 0
		.amdhsa_kernarg_size 528
		.amdhsa_user_sgpr_count 2
		.amdhsa_user_sgpr_dispatch_ptr 0
		.amdhsa_user_sgpr_queue_ptr 0
		.amdhsa_user_sgpr_kernarg_segment_ptr 1
		.amdhsa_user_sgpr_dispatch_id 0
		.amdhsa_user_sgpr_kernarg_preload_length 0
		.amdhsa_user_sgpr_kernarg_preload_offset 0
		.amdhsa_user_sgpr_private_segment_size 0
		.amdhsa_wavefront_size32 1
		.amdhsa_uses_dynamic_stack 0
		.amdhsa_enable_private_segment 0
		.amdhsa_system_sgpr_workgroup_id_x 1
		.amdhsa_system_sgpr_workgroup_id_y 0
		.amdhsa_system_sgpr_workgroup_id_z 0
		.amdhsa_system_sgpr_workgroup_info 0
		.amdhsa_system_vgpr_workitem_id 0
		.amdhsa_next_free_vgpr 24
		.amdhsa_next_free_sgpr 92
		.amdhsa_named_barrier_count 0
		.amdhsa_reserve_vcc 1
		.amdhsa_float_round_mode_32 0
		.amdhsa_float_round_mode_16_64 0
		.amdhsa_float_denorm_mode_32 3
		.amdhsa_float_denorm_mode_16_64 3
		.amdhsa_fp16_overflow 0
		.amdhsa_memory_ordered 1
		.amdhsa_forward_progress 1
		.amdhsa_inst_pref_size 20
		.amdhsa_round_robin_scheduling 0
		.amdhsa_exception_fp_ieee_invalid_op 0
		.amdhsa_exception_fp_denorm_src 0
		.amdhsa_exception_fp_ieee_div_zero 0
		.amdhsa_exception_fp_ieee_overflow 0
		.amdhsa_exception_fp_ieee_underflow 0
		.amdhsa_exception_fp_ieee_inexact 0
		.amdhsa_exception_int_div_zero 0
	.end_amdhsa_kernel
	.text
.Lfunc_end88:
	.size	naive_conv_ab_packed_wrw_ndhwc_half_double_half, .Lfunc_end88-naive_conv_ab_packed_wrw_ndhwc_half_double_half
                                        ; -- End function
	.set naive_conv_ab_packed_wrw_ndhwc_half_double_half.num_vgpr, 24
	.set naive_conv_ab_packed_wrw_ndhwc_half_double_half.num_agpr, 0
	.set naive_conv_ab_packed_wrw_ndhwc_half_double_half.numbered_sgpr, 92
	.set naive_conv_ab_packed_wrw_ndhwc_half_double_half.num_named_barrier, 0
	.set naive_conv_ab_packed_wrw_ndhwc_half_double_half.private_seg_size, 0
	.set naive_conv_ab_packed_wrw_ndhwc_half_double_half.uses_vcc, 1
	.set naive_conv_ab_packed_wrw_ndhwc_half_double_half.uses_flat_scratch, 0
	.set naive_conv_ab_packed_wrw_ndhwc_half_double_half.has_dyn_sized_stack, 0
	.set naive_conv_ab_packed_wrw_ndhwc_half_double_half.has_recursion, 0
	.set naive_conv_ab_packed_wrw_ndhwc_half_double_half.has_indirect_call, 0
	.section	.AMDGPU.csdata,"",@progbits
; Kernel info:
; codeLenInByte = 2488
; TotalNumSgprs: 94
; NumVgprs: 24
; ScratchSize: 0
; MemoryBound: 0
; FloatMode: 240
; IeeeMode: 1
; LDSByteSize: 0 bytes/workgroup (compile time only)
; SGPRBlocks: 0
; VGPRBlocks: 1
; NumSGPRsForWavesPerEU: 94
; NumVGPRsForWavesPerEU: 24
; NamedBarCnt: 0
; Occupancy: 16
; WaveLimiterHint : 0
; COMPUTE_PGM_RSRC2:SCRATCH_EN: 0
; COMPUTE_PGM_RSRC2:USER_SGPR: 2
; COMPUTE_PGM_RSRC2:TRAP_HANDLER: 0
; COMPUTE_PGM_RSRC2:TGID_X_EN: 1
; COMPUTE_PGM_RSRC2:TGID_Y_EN: 0
; COMPUTE_PGM_RSRC2:TGID_Z_EN: 0
; COMPUTE_PGM_RSRC2:TIDIG_COMP_CNT: 0
	.text
	.protected	naive_conv_ab_nonpacked_wrw_ndhwc_half_double_half ; -- Begin function naive_conv_ab_nonpacked_wrw_ndhwc_half_double_half
	.globl	naive_conv_ab_nonpacked_wrw_ndhwc_half_double_half
	.p2align	8
	.type	naive_conv_ab_nonpacked_wrw_ndhwc_half_double_half,@function
naive_conv_ab_nonpacked_wrw_ndhwc_half_double_half: ; @naive_conv_ab_nonpacked_wrw_ndhwc_half_double_half
; %bb.0:
	s_clause 0x2
	s_load_b512 s[4:19], s[0:1], 0xb8
	s_load_b32 s68, s[0:1], 0x108
	s_load_b128 s[28:31], s[0:1], 0xf8
	s_bfe_u32 s2, ttmp6, 0x4000c
	s_and_b32 s3, ttmp6, 15
	s_add_co_i32 s2, s2, 1
	s_getreg_b32 s20, hwreg(HW_REG_IB_STS2, 6, 4)
	s_mul_i32 s2, ttmp9, s2
	s_mov_b32 s35, 0
	s_add_co_i32 s3, s3, s2
	s_cmp_eq_u32 s20, 0
	s_mov_b32 s21, exec_lo
	s_cselect_b32 s69, ttmp9, s3
	s_wait_kmcnt 0x0
	s_abs_i32 s70, s8
	s_mul_i32 s3, s68, s9
	s_cvt_f32_u32 s2, s70
	s_delay_alu instid0(SALU_CYCLE_3) | instskip(SKIP_1) | instid1(SALU_CYCLE_1)
	v_rcp_iflag_f32_e32 v1, s2
	s_mul_i32 s2, s3, s31
	s_mul_i32 s33, s2, s30
	v_nop
	s_delay_alu instid0(TRANS32_DEP_1)
	v_readfirstlane_b32 s20, v1
	v_cmpx_gt_i32_e64 s33, v0
	s_cbranch_execz .LBB89_23
; %bb.1:
	s_mul_f32 s30, s20, 0x4f7ffffe
	s_sub_co_i32 s34, 0, s70
	s_mov_b32 s53, s35
	s_load_b256 s[20:27], s[0:1], 0x0
	s_cvt_u32_f32 s30, s30
	s_ashr_i32 s71, s69, 31
	s_ashr_i32 s74, s8, 31
	v_mov_b32_e32 v3, 0
	s_mul_i32 s36, s34, s30
	s_abs_i32 s34, s69
	s_mul_hi_u32 s36, s30, s36
	s_xor_b32 s71, s71, s74
	s_add_co_i32 s52, s30, s36
	s_load_b512 s[36:51], s[0:1], 0x28
	s_mul_u64 s[72:73], s[34:35], s[52:53]
	s_load_b512 s[52:67], s[0:1], 0x68
	s_mul_i32 s30, s73, s70
	s_load_b64 s[74:75], s[0:1], 0x20
	s_sub_co_i32 s30, s34, s30
	s_add_co_i32 s34, s73, 1
	s_sub_co_i32 s72, s30, s70
	s_cmp_ge_u32 s30, s70
	s_mov_b32 s91, 0
	s_cselect_b32 s34, s34, s73
	s_cselect_b32 s30, s72, s30
	s_add_co_i32 s72, s34, 1
	s_cmp_ge_u32 s30, s70
	s_cselect_b32 s30, s72, s34
	s_wait_kmcnt 0x0
	v_cmp_neq_f64_e64 s34, s[24:25], 1.0
	s_xor_b32 s30, s30, s71
	s_delay_alu instid0(SALU_CYCLE_1)
	s_sub_co_i32 s70, s30, s71
	v_cmp_neq_f64_e64 s30, s[26:27], 0
	s_mul_i32 s8, s70, s8
	s_ashr_i32 s71, s70, 31
	s_sub_co_i32 s72, s69, s8
	s_mul_u64 s[58:59], s[58:59], s[70:71]
	s_ashr_i32 s73, s72, 31
	s_mul_u64 s[38:39], s[38:39], s[70:71]
	s_mul_u64 s[62:63], s[62:63], s[70:71]
	s_lshl_b64 s[70:71], s[58:59], 1
	s_mul_u64 s[56:57], s[56:57], s[72:73]
	s_mul_u64 s[58:59], s[60:61], s[72:73]
	s_lshl_b64 s[38:39], s[38:39], 1
	s_lshl_b64 s[62:63], s[62:63], 1
	;; [unrolled: 1-line block ×4, first 2 shown]
	s_cmp_lt_i32 s7, 1
	s_load_b32 s69, s[0:1], 0x11c
	s_cselect_b32 s8, -1, 0
	s_cmp_gt_i32 s10, 0
	s_add_nc_u64 s[20:21], s[20:21], s[38:39]
	s_cselect_b32 s78, -1, 0
	s_cmp_gt_i32 s11, 0
	s_add_nc_u64 s[38:39], s[74:75], s[62:63]
	;; [unrolled: 3-line block ×3, first 2 shown]
	s_cselect_b32 s80, -1, 0
	s_abs_i32 s81, s9
	s_abs_i32 s82, s68
	s_cvt_f32_u32 s56, s81
	s_cvt_f32_u32 s68, s82
	s_abs_i32 s85, s3
	s_or_b32 s86, s34, s30
	v_rcp_iflag_f32_e32 v1, s56
	s_load_b128 s[56:59], s[0:1], 0xa8
	s_wait_xcnt 0x0
	s_add_nc_u64 s[0:1], s[22:23], s[70:71]
	s_cvt_f32_u32 s30, s85
	s_add_nc_u64 s[22:23], s[0:1], s[60:61]
	v_rcp_iflag_f32_e32 v2, s68
	s_sub_co_i32 s34, 0, s81
	v_readfirstlane_b32 s0, v1
	v_rcp_iflag_f32_e32 v1, s30
	s_abs_i32 s87, s31
	s_abs_i32 s88, s2
	s_sub_co_i32 s31, 0, s82
	s_mul_f32 s0, s0, 0x4f7ffffe
	v_readfirstlane_b32 s1, v2
	s_ashr_i32 s89, s3, 31
	v_readfirstlane_b32 s60, v1
	s_cvt_u32_f32 s0, s0
	s_sub_co_i32 s3, 0, s87
	s_mul_f32 s1, s1, 0x4f7ffffe
	s_wait_kmcnt 0x0
	s_and_b32 s83, s69, 0xffff
	s_mul_i32 s34, s34, s0
	s_ashr_i32 s84, s9, 31
	s_mul_hi_u32 s30, s0, s34
	s_cvt_f32_u32 s34, s87
	s_cvt_u32_f32 s1, s1
	s_add_co_i32 s30, s0, s30
	s_mov_b32 s61, s35
	v_rcp_iflag_f32_e32 v1, s34
	s_mul_f32 s34, s60, 0x4f7ffffe
	s_cvt_f32_u32 s60, s88
	s_mul_i32 s0, s31, s1
	s_mov_b32 s31, s35
	s_mul_hi_u32 s0, s1, s0
	v_rcp_iflag_f32_e32 v2, s60
	v_readfirstlane_b32 s62, v1
	s_cvt_u32_f32 s34, s34
	s_add_co_i32 s60, s1, s0
	s_sub_co_i32 s0, 0, s85
	v_mov_b32_e32 v1, 0x7e00
	s_mul_i32 s0, s0, s34
	v_readfirstlane_b32 s63, v2
	s_mul_f32 s1, s62, 0x4f7ffffe
	s_mul_hi_u32 s0, s34, s0
	s_mov_b32 s69, s35
	s_add_co_i32 s62, s34, s0
	s_cvt_u32_f32 s0, s1
	s_mul_f32 s1, s63, 0x4f7ffffe
	s_sub_co_i32 s34, 0, s88
	s_mov_b32 s63, s35
	s_mul_i32 s3, s3, s0
	s_cvt_u32_f32 s1, s1
	s_mul_hi_u32 s3, s0, s3
	s_ashr_i32 s90, s2, 31
	s_add_co_i32 s68, s0, s3
	s_mul_i32 s34, s34, s1
	s_mov_b32 s71, s35
	s_mul_hi_u32 s0, s1, s34
	s_lshl_b64 s[58:59], s[58:59], 1
	s_add_co_i32 s70, s1, s0
	s_lshl_b64 s[56:57], s[56:57], 1
	s_lshl_b64 s[66:67], s[66:67], 1
	;; [unrolled: 1-line block ×3, first 2 shown]
	s_sub_co_i32 s29, 0, s29
	s_branch .LBB89_3
.LBB89_2:                               ;   in Loop: Header=BB89_3 Depth=1
	v_add_nc_u32_e32 v0, s83, v0
	s_delay_alu instid0(VALU_DEP_1)
	v_cmp_le_i32_e32 vcc_lo, s33, v0
	s_or_b32 s91, vcc_lo, s91
	s_wait_xcnt 0x0
	s_and_not1_b32 exec_lo, exec_lo, s91
	s_cbranch_execz .LBB89_23
.LBB89_3:                               ; =>This Loop Header: Depth=1
                                        ;     Child Loop BB89_8 Depth 2
                                        ;       Child Loop BB89_11 Depth 3
                                        ;         Child Loop BB89_14 Depth 4
                                        ;           Child Loop BB89_17 Depth 5
	v_sub_nc_u32_e32 v2, 0, v0
	s_mov_b32 s34, -1
	v_dual_mov_b32 v13, v3 :: v_dual_ashrrev_i32 v8, 31, v0
	s_delay_alu instid0(VALU_DEP_2) | instskip(NEXT) | instid1(VALU_DEP_1)
	v_max_i32_e32 v2, v0, v2
	v_mul_u64_e32 v[4:5], s[30:31], v[2:3]
	v_mul_u64_e32 v[6:7], s[62:63], v[2:3]
	s_delay_alu instid0(VALU_DEP_2) | instskip(NEXT) | instid1(VALU_DEP_2)
	v_mul_lo_u32 v4, v5, s81
	v_mul_lo_u32 v6, v7, s85
	s_delay_alu instid0(VALU_DEP_2) | instskip(NEXT) | instid1(VALU_DEP_2)
	v_dual_add_nc_u32 v9, 1, v5 :: v_dual_sub_nc_u32 v4, v2, v4
	v_sub_nc_u32_e32 v6, v2, v6
	s_delay_alu instid0(VALU_DEP_2) | instskip(SKIP_1) | instid1(VALU_DEP_3)
	v_cmp_le_u32_e32 vcc_lo, s81, v4
	v_add_nc_u32_e32 v10, 1, v7
	v_subrev_nc_u32_e32 v11, s85, v6
	v_cmp_le_u32_e64 s0, s85, v6
	v_cndmask_b32_e32 v5, v5, v9, vcc_lo
	v_subrev_nc_u32_e32 v9, s81, v4
	s_delay_alu instid0(VALU_DEP_3) | instskip(NEXT) | instid1(VALU_DEP_2)
	v_dual_cndmask_b32 v7, v7, v10, s0 :: v_dual_bitop2_b32 v10, s84, v8 bitop3:0x14
	v_dual_cndmask_b32 v6, v6, v11, s0 :: v_dual_cndmask_b32 v4, v4, v9, vcc_lo
	s_delay_alu instid0(VALU_DEP_2) | instskip(NEXT) | instid1(VALU_DEP_2)
	v_dual_add_nc_u32 v9, 1, v5 :: v_dual_add_nc_u32 v11, 1, v7
	v_cmp_le_u32_e32 vcc_lo, s81, v4
	s_delay_alu instid0(VALU_DEP_2) | instskip(NEXT) | instid1(VALU_DEP_4)
	v_dual_cndmask_b32 v4, v5, v9, vcc_lo :: v_dual_bitop2_b32 v12, s89, v8 bitop3:0x14
	v_cmp_le_u32_e32 vcc_lo, s85, v6
	s_delay_alu instid0(VALU_DEP_2) | instskip(NEXT) | instid1(VALU_DEP_1)
	v_dual_cndmask_b32 v5, v7, v11, vcc_lo :: v_dual_bitop2_b32 v4, v4, v10 bitop3:0x14
	v_dual_mov_b32 v7, v3 :: v_dual_sub_nc_u32 v10, v4, v10
	s_delay_alu instid0(VALU_DEP_1) | instskip(NEXT) | instid1(VALU_DEP_1)
	v_dual_sub_nc_u32 v4, 0, v10 :: v_dual_bitop2_b32 v5, v5, v12 bitop3:0x14
	v_sub_nc_u32_e32 v9, v5, v12
	s_delay_alu instid0(VALU_DEP_1) | instskip(NEXT) | instid1(VALU_DEP_1)
	v_dual_sub_nc_u32 v5, 0, v9 :: v_dual_max_i32 v6, v10, v4
	v_mul_u64_e32 v[14:15], s[60:61], v[6:7]
	s_delay_alu instid0(VALU_DEP_2) | instskip(SKIP_1) | instid1(VALU_DEP_3)
	v_max_i32_e32 v12, v9, v5
	v_mul_u64_e32 v[4:5], s[70:71], v[2:3]
	v_mul_lo_u32 v4, v15, s82
	s_delay_alu instid0(VALU_DEP_2) | instskip(NEXT) | instid1(VALU_DEP_2)
	v_mul_lo_u32 v11, v5, s88
	v_sub_nc_u32_e32 v4, v6, v4
	v_mul_u64_e32 v[16:17], s[68:69], v[12:13]
	s_delay_alu instid0(VALU_DEP_2) | instskip(NEXT) | instid1(VALU_DEP_2)
	v_cmp_le_u32_e32 vcc_lo, s82, v4
	v_mul_lo_u32 v7, v17, s87
	s_delay_alu instid0(VALU_DEP_1) | instskip(SKIP_3) | instid1(VALU_DEP_2)
	v_sub_nc_u32_e32 v6, v12, v7
	v_sub_nc_u32_e32 v7, v2, v11
	v_subrev_nc_u32_e32 v2, s82, v4
	v_mul_lo_u32 v11, v10, s9
	v_cndmask_b32_e32 v2, v4, v2, vcc_lo
	s_delay_alu instid0(VALU_DEP_4) | instskip(SKIP_1) | instid1(VALU_DEP_3)
	v_subrev_nc_u32_e32 v13, s88, v7
	v_cmp_le_u32_e64 s3, s88, v7
	v_cmp_le_u32_e64 s2, s82, v2
	s_delay_alu instid0(VALU_DEP_2) | instskip(SKIP_2) | instid1(VALU_DEP_3)
	v_cndmask_b32_e64 v7, v7, v13, s3
	v_subrev_nc_u32_e32 v12, s87, v6
	v_cmp_le_u32_e32 vcc_lo, s87, v6
	v_cmp_le_u32_e64 s0, s88, v7
	s_delay_alu instid0(VALU_DEP_3) | instskip(SKIP_1) | instid1(VALU_DEP_1)
	v_dual_cndmask_b32 v4, v6, v12, vcc_lo :: v_dual_sub_nc_u32 v6, v0, v11
	s_and_not1_b32 vcc_lo, exec_lo, s8
	v_cmp_le_u32_e64 s1, s87, v4
	s_cbranch_vccnz .LBB89_5
; %bb.4:                                ;   in Loop: Header=BB89_3 Depth=1
	v_ashrrev_i32_e32 v7, 31, v6
	s_mov_b32 s34, 0
.LBB89_5:                               ;   in Loop: Header=BB89_3 Depth=1
	v_dual_add_nc_u32 v11, 1, v5 :: v_dual_ashrrev_i32 v10, 31, v10
	v_subrev_nc_u32_e32 v12, s87, v4
	v_ashrrev_i32_e32 v9, 31, v9
	s_and_not1_b32 vcc_lo, exec_lo, s34
	s_delay_alu instid0(VALU_DEP_3) | instskip(SKIP_1) | instid1(VALU_DEP_1)
	v_cndmask_b32_e64 v5, v5, v11, s3
	v_subrev_nc_u32_e32 v11, s82, v2
	v_dual_cndmask_b32 v4, v4, v12, s1 :: v_dual_cndmask_b32 v2, v2, v11, s2
	s_delay_alu instid0(VALU_DEP_3) | instskip(NEXT) | instid1(VALU_DEP_1)
	v_dual_add_nc_u32 v13, 1, v5 :: v_dual_bitop2_b32 v11, s90, v8 bitop3:0x14
	v_dual_cndmask_b32 v5, v5, v13, s0 :: v_dual_bitop2_b32 v2, v2, v10 bitop3:0x14
	s_delay_alu instid0(VALU_DEP_1) | instskip(NEXT) | instid1(VALU_DEP_1)
	v_dual_sub_nc_u32 v8, v2, v10 :: v_dual_bitop2_b32 v12, v4, v9 bitop3:0x14
	v_dual_sub_nc_u32 v19, v12, v9 :: v_dual_bitop2_b32 v13, v5, v11 bitop3:0x14
	v_mov_b64_e32 v[4:5], 0
	s_delay_alu instid0(VALU_DEP_2)
	v_sub_nc_u32_e32 v18, v13, v11
	s_cbranch_vccnz .LBB89_19
; %bb.6:                                ;   in Loop: Header=BB89_3 Depth=1
	v_ashrrev_i32_e32 v7, 31, v6
	s_delay_alu instid0(VALU_DEP_2)
	v_mul_lo_u32 v9, v18, s16
	v_mul_lo_u32 v20, v19, s17
	v_mad_u32 v21, v8, s18, s29
	v_mov_b64_e32 v[4:5], 0
	v_mul_u64_e32 v[10:11], s[36:37], v[6:7]
	s_mov_b32 s34, 0
	s_mov_b64 s[2:3], s[38:39]
	s_delay_alu instid0(VALU_DEP_1)
	v_lshl_add_u64 v[10:11], v[10:11], 1, s[20:21]
	s_branch .LBB89_8
.LBB89_7:                               ;   in Loop: Header=BB89_8 Depth=2
	s_add_co_i32 s34, s34, 1
	s_add_nc_u64 s[2:3], s[2:3], s[58:59]
	s_cmp_eq_u32 s34, s7
	s_cbranch_scc1 .LBB89_19
.LBB89_8:                               ;   Parent Loop BB89_3 Depth=1
                                        ; =>  This Loop Header: Depth=2
                                        ;       Child Loop BB89_11 Depth 3
                                        ;         Child Loop BB89_14 Depth 4
                                        ;           Child Loop BB89_17 Depth 5
	s_and_not1_b32 vcc_lo, exec_lo, s78
	s_cbranch_vccnz .LBB89_7
; %bb.9:                                ;   in Loop: Header=BB89_8 Depth=2
	s_mul_u64 s[0:1], s[46:47], s[34:35]
	s_mov_b64 s[72:73], s[2:3]
	v_lshl_add_u64 v[12:13], s[0:1], 1, v[10:11]
	s_mov_b32 s1, 0
	s_branch .LBB89_11
.LBB89_10:                              ;   in Loop: Header=BB89_11 Depth=3
	s_add_co_i32 s1, s1, 1
	s_add_nc_u64 s[72:73], s[72:73], s[56:57]
	s_cmp_eq_u32 s1, s10
	s_cbranch_scc1 .LBB89_7
.LBB89_11:                              ;   Parent Loop BB89_3 Depth=1
                                        ;     Parent Loop BB89_8 Depth=2
                                        ; =>    This Loop Header: Depth=3
                                        ;         Child Loop BB89_14 Depth 4
                                        ;           Child Loop BB89_17 Depth 5
	s_and_not1_b32 vcc_lo, exec_lo, s79
	s_cbranch_vccnz .LBB89_10
; %bb.12:                               ;   in Loop: Header=BB89_11 Depth=3
	s_mul_i32 s0, s1, s13
	s_mov_b32 s92, 0
	s_sub_co_i32 s0, s0, s19
	s_mov_b64 s[74:75], s[72:73]
	v_add_nc_u32_e32 v2, s0, v9
	s_delay_alu instid0(VALU_DEP_1)
	v_mul_u64_e32 v[14:15], s[44:45], v[2:3]
	v_cmp_gt_i32_e32 vcc_lo, 0, v2
	v_cmp_le_i32_e64 s0, s4, v2
	s_or_b32 s93, vcc_lo, s0
	v_lshl_add_u64 v[14:15], v[14:15], 1, v[12:13]
	s_branch .LBB89_14
.LBB89_13:                              ;   in Loop: Header=BB89_14 Depth=4
	s_add_co_i32 s92, s92, 1
	s_add_nc_u64 s[74:75], s[74:75], s[66:67]
	s_cmp_eq_u32 s92, s11
	s_cbranch_scc1 .LBB89_10
.LBB89_14:                              ;   Parent Loop BB89_3 Depth=1
                                        ;     Parent Loop BB89_8 Depth=2
                                        ;       Parent Loop BB89_11 Depth=3
                                        ; =>      This Loop Header: Depth=4
                                        ;           Child Loop BB89_17 Depth 5
	s_and_not1_b32 vcc_lo, exec_lo, s80
	s_cbranch_vccnz .LBB89_13
; %bb.15:                               ;   in Loop: Header=BB89_14 Depth=4
	s_mul_i32 s0, s92, s14
	s_mov_b64 s[76:77], s[74:75]
	s_sub_co_i32 s0, s0, s28
	s_mov_b32 s95, s12
	v_add_nc_u32_e32 v2, s0, v20
	s_delay_alu instid0(VALU_DEP_1) | instskip(SKIP_4) | instid1(SALU_CYCLE_1)
	v_mul_u64_e32 v[16:17], s[42:43], v[2:3]
	v_cmp_gt_i32_e32 vcc_lo, 0, v2
	v_cmp_le_i32_e64 s0, s5, v2
	v_mov_b32_e32 v2, v21
	s_or_b32 s0, vcc_lo, s0
	s_or_b32 s94, s93, s0
	v_lshl_add_u64 v[16:17], v[16:17], 1, v[14:15]
	s_branch .LBB89_17
.LBB89_16:                              ;   in Loop: Header=BB89_17 Depth=5
	s_wait_xcnt 0x0
	s_or_b32 exec_lo, exec_lo, s0
	v_add_nc_u32_e32 v2, s15, v2
	s_add_co_i32 s95, s95, -1
	s_add_nc_u64 s[76:77], s[76:77], s[64:65]
	s_cmp_eq_u32 s95, 0
	s_cbranch_scc1 .LBB89_13
.LBB89_17:                              ;   Parent Loop BB89_3 Depth=1
                                        ;     Parent Loop BB89_8 Depth=2
                                        ;       Parent Loop BB89_11 Depth=3
                                        ;         Parent Loop BB89_14 Depth=4
                                        ; =>        This Inner Loop Header: Depth=5
	v_cmp_gt_i32_e32 vcc_lo, 0, v2
	v_cmp_le_i32_e64 s0, s6, v2
	s_or_b32 s0, vcc_lo, s0
	s_delay_alu instid0(SALU_CYCLE_1) | instskip(NEXT) | instid1(SALU_CYCLE_1)
	s_nor_b32 s96, s94, s0
	s_and_saveexec_b32 s0, s96
	s_cbranch_execz .LBB89_16
; %bb.18:                               ;   in Loop: Header=BB89_17 Depth=5
	v_mul_u64_e32 v[22:23], s[40:41], v[2:3]
	s_delay_alu instid0(VALU_DEP_1)
	v_lshl_add_u64 v[22:23], v[22:23], 1, v[16:17]
	global_load_u16 v22, v[22:23], off
	global_load_u16 v23, v3, s[76:77]
	s_wait_loadcnt 0x1
	v_cvt_f32_f16_e32 v22, v22
	s_wait_loadcnt 0x0
	v_cvt_f32_f16_e32 v24, v23
	s_delay_alu instid0(VALU_DEP_2) | instskip(NEXT) | instid1(VALU_DEP_2)
	v_cvt_f64_f32_e32 v[22:23], v22
	v_cvt_f64_f32_e32 v[24:25], v24
	s_delay_alu instid0(VALU_DEP_1)
	v_fmac_f64_e32 v[4:5], v[22:23], v[24:25]
	s_branch .LBB89_16
.LBB89_19:                              ;   in Loop: Header=BB89_3 Depth=1
	v_ashrrev_i32_e32 v9, 31, v8
	s_and_b32 vcc_lo, exec_lo, s86
	s_mov_b32 s0, -1
	s_delay_alu instid0(VALU_DEP_1) | instskip(NEXT) | instid1(VALU_DEP_1)
	v_mul_u64_e32 v[8:9], s[50:51], v[8:9]
	v_mad_nc_u64_u32 v[8:9], s52, v19, v[8:9]
	s_delay_alu instid0(VALU_DEP_1) | instskip(SKIP_1) | instid1(VALU_DEP_1)
	v_mad_u32 v2, s53, v19, v9
	v_ashrrev_i32_e32 v9, 31, v19
	v_mad_u32 v9, s52, v9, v2
	s_delay_alu instid0(VALU_DEP_1) | instskip(NEXT) | instid1(VALU_DEP_1)
	v_mad_nc_u64_u32 v[8:9], s54, v18, v[8:9]
	v_mad_u32 v2, s55, v18, v9
	v_ashrrev_i32_e32 v9, 31, v18
	s_delay_alu instid0(VALU_DEP_1) | instskip(NEXT) | instid1(VALU_DEP_1)
	v_mad_u32 v9, s54, v9, v2
	v_mad_nc_u64_u32 v[8:9], v6, s48, v[8:9]
	s_delay_alu instid0(VALU_DEP_1) | instskip(NEXT) | instid1(VALU_DEP_1)
	v_mad_u32 v2, v7, s48, v9
	v_mad_u32 v9, v6, s49, v2
	s_cbranch_vccz .LBB89_21
; %bb.20:                               ;   in Loop: Header=BB89_3 Depth=1
	s_delay_alu instid0(VALU_DEP_1) | instskip(SKIP_4) | instid1(VALU_DEP_1)
	v_lshl_add_u64 v[6:7], v[8:9], 1, s[22:23]
	s_mov_b32 s0, 0
	global_load_u16 v2, v[6:7], off
	s_wait_loadcnt 0x0
	v_cvt_f32_f16_e32 v2, v2
	v_cvt_f64_f32_e32 v[10:11], v2
	s_delay_alu instid0(VALU_DEP_1) | instskip(NEXT) | instid1(VALU_DEP_1)
	v_mul_f64_e32 v[10:11], s[26:27], v[10:11]
	v_fmac_f64_e32 v[10:11], s[24:25], v[4:5]
	s_delay_alu instid0(VALU_DEP_1) | instskip(SKIP_2) | instid1(VALU_DEP_3)
	v_and_or_b32 v2, 0x1ff, v11, v10
	v_lshrrev_b32_e32 v10, 8, v11
	v_bfe_u32 v12, v11, 20, 11
	v_cmp_ne_u32_e32 vcc_lo, 0, v2
	s_delay_alu instid0(VALU_DEP_2) | instskip(SKIP_2) | instid1(VALU_DEP_1)
	v_sub_nc_u32_e32 v13, 0x3f1, v12
	v_add_nc_u32_e32 v12, 0xfffffc10, v12
	v_cndmask_b32_e64 v2, 0, 1, vcc_lo
	v_and_or_b32 v2, 0xffe, v10, v2
	s_delay_alu instid0(VALU_DEP_4) | instskip(NEXT) | instid1(VALU_DEP_2)
	v_med3_i32 v10, v13, 0, 13
	v_or_b32_e32 v13, 0x1000, v2
	s_delay_alu instid0(VALU_DEP_1) | instskip(NEXT) | instid1(VALU_DEP_1)
	v_lshrrev_b32_e32 v14, v10, v13
	v_lshlrev_b32_e32 v10, v10, v14
	s_delay_alu instid0(VALU_DEP_1) | instskip(SKIP_3) | instid1(VALU_DEP_2)
	v_cmp_ne_u32_e32 vcc_lo, v10, v13
	v_lshl_or_b32 v13, v12, 12, v2
	v_cndmask_b32_e64 v10, 0, 1, vcc_lo
	v_cmp_gt_i32_e32 vcc_lo, 1, v12
	v_or_b32_e32 v10, v14, v10
	s_delay_alu instid0(VALU_DEP_1) | instskip(NEXT) | instid1(VALU_DEP_1)
	v_cndmask_b32_e32 v10, v13, v10, vcc_lo
	v_dual_lshrrev_b32 v10, 2, v10 :: v_dual_bitop2_b32 v13, 7, v10 bitop3:0x40
	s_delay_alu instid0(VALU_DEP_1) | instskip(SKIP_4) | instid1(VALU_DEP_2)
	v_cmp_lt_i32_e32 vcc_lo, 5, v13
	v_cndmask_b32_e64 v14, 0, 1, vcc_lo
	v_cmp_eq_u32_e32 vcc_lo, 3, v13
	v_cndmask_b32_e64 v13, 0, 1, vcc_lo
	v_cmp_ne_u32_e32 vcc_lo, 0, v2
	v_or_b32_e32 v13, v13, v14
	v_cndmask_b32_e32 v2, 0x7c00, v1, vcc_lo
	v_cmp_gt_i32_e32 vcc_lo, 31, v12
	s_delay_alu instid0(VALU_DEP_3) | instskip(NEXT) | instid1(VALU_DEP_1)
	v_add_nc_u32_e32 v10, v10, v13
	v_cndmask_b32_e32 v10, 0x7c00, v10, vcc_lo
	v_cmp_eq_u32_e32 vcc_lo, 0x40f, v12
	s_delay_alu instid0(VALU_DEP_2) | instskip(NEXT) | instid1(VALU_DEP_1)
	v_dual_cndmask_b32 v2, v10, v2, vcc_lo :: v_dual_lshrrev_b32 v10, 16, v11
	v_and_or_b32 v2, 0x8000, v10, v2
	global_store_b16 v[6:7], v2, off
.LBB89_21:                              ;   in Loop: Header=BB89_3 Depth=1
	s_and_not1_b32 vcc_lo, exec_lo, s0
	s_cbranch_vccnz .LBB89_2
; %bb.22:                               ;   in Loop: Header=BB89_3 Depth=1
	s_wait_xcnt 0x0
	v_and_or_b32 v2, 0x1ff, v5, v4
	v_lshrrev_b32_e32 v4, 8, v5
	v_bfe_u32 v6, v5, 20, 11
	v_lshrrev_b32_e32 v5, 16, v5
	s_delay_alu instid0(VALU_DEP_4) | instskip(NEXT) | instid1(VALU_DEP_3)
	v_cmp_ne_u32_e32 vcc_lo, 0, v2
	v_sub_nc_u32_e32 v7, 0x3f1, v6
	v_add_nc_u32_e32 v6, 0xfffffc10, v6
	v_cndmask_b32_e64 v2, 0, 1, vcc_lo
	s_delay_alu instid0(VALU_DEP_1) | instskip(NEXT) | instid1(VALU_DEP_4)
	v_and_or_b32 v2, 0xffe, v4, v2
	v_med3_i32 v4, v7, 0, 13
	s_delay_alu instid0(VALU_DEP_2) | instskip(NEXT) | instid1(VALU_DEP_1)
	v_or_b32_e32 v7, 0x1000, v2
	v_lshrrev_b32_e32 v10, v4, v7
	s_delay_alu instid0(VALU_DEP_1) | instskip(NEXT) | instid1(VALU_DEP_1)
	v_lshlrev_b32_e32 v4, v4, v10
	v_cmp_ne_u32_e32 vcc_lo, v4, v7
	v_lshl_or_b32 v7, v6, 12, v2
	v_cndmask_b32_e64 v4, 0, 1, vcc_lo
	v_cmp_gt_i32_e32 vcc_lo, 1, v6
	s_delay_alu instid0(VALU_DEP_2) | instskip(NEXT) | instid1(VALU_DEP_1)
	v_or_b32_e32 v4, v10, v4
	v_cndmask_b32_e32 v4, v7, v4, vcc_lo
	s_delay_alu instid0(VALU_DEP_1) | instskip(NEXT) | instid1(VALU_DEP_1)
	v_dual_lshrrev_b32 v4, 2, v4 :: v_dual_bitop2_b32 v7, 7, v4 bitop3:0x40
	v_cmp_lt_i32_e32 vcc_lo, 5, v7
	v_cndmask_b32_e64 v10, 0, 1, vcc_lo
	v_cmp_eq_u32_e32 vcc_lo, 3, v7
	v_cndmask_b32_e64 v7, 0, 1, vcc_lo
	v_cmp_ne_u32_e32 vcc_lo, 0, v2
	s_delay_alu instid0(VALU_DEP_2) | instskip(SKIP_2) | instid1(VALU_DEP_3)
	v_or_b32_e32 v7, v7, v10
	v_cndmask_b32_e32 v2, 0x7c00, v1, vcc_lo
	v_cmp_gt_i32_e32 vcc_lo, 31, v6
	v_add_nc_u32_e32 v4, v4, v7
	s_delay_alu instid0(VALU_DEP_1) | instskip(SKIP_1) | instid1(VALU_DEP_2)
	v_cndmask_b32_e32 v4, 0x7c00, v4, vcc_lo
	v_cmp_eq_u32_e32 vcc_lo, 0x40f, v6
	v_cndmask_b32_e32 v2, v4, v2, vcc_lo
	s_delay_alu instid0(VALU_DEP_1)
	v_and_or_b32 v2, 0x8000, v5, v2
	v_lshl_add_u64 v[4:5], v[8:9], 1, s[22:23]
	global_store_b16 v[4:5], v2, off
	s_branch .LBB89_2
.LBB89_23:
	s_endpgm
	.section	.rodata,"a",@progbits
	.p2align	6, 0x0
	.amdhsa_kernel naive_conv_ab_nonpacked_wrw_ndhwc_half_double_half
		.amdhsa_group_segment_fixed_size 0
		.amdhsa_private_segment_fixed_size 0
		.amdhsa_kernarg_size 528
		.amdhsa_user_sgpr_count 2
		.amdhsa_user_sgpr_dispatch_ptr 0
		.amdhsa_user_sgpr_queue_ptr 0
		.amdhsa_user_sgpr_kernarg_segment_ptr 1
		.amdhsa_user_sgpr_dispatch_id 0
		.amdhsa_user_sgpr_kernarg_preload_length 0
		.amdhsa_user_sgpr_kernarg_preload_offset 0
		.amdhsa_user_sgpr_private_segment_size 0
		.amdhsa_wavefront_size32 1
		.amdhsa_uses_dynamic_stack 0
		.amdhsa_enable_private_segment 0
		.amdhsa_system_sgpr_workgroup_id_x 1
		.amdhsa_system_sgpr_workgroup_id_y 0
		.amdhsa_system_sgpr_workgroup_id_z 0
		.amdhsa_system_sgpr_workgroup_info 0
		.amdhsa_system_vgpr_workitem_id 0
		.amdhsa_next_free_vgpr 26
		.amdhsa_next_free_sgpr 97
		.amdhsa_named_barrier_count 0
		.amdhsa_reserve_vcc 1
		.amdhsa_float_round_mode_32 0
		.amdhsa_float_round_mode_16_64 0
		.amdhsa_float_denorm_mode_32 3
		.amdhsa_float_denorm_mode_16_64 3
		.amdhsa_fp16_overflow 0
		.amdhsa_memory_ordered 1
		.amdhsa_forward_progress 1
		.amdhsa_inst_pref_size 20
		.amdhsa_round_robin_scheduling 0
		.amdhsa_exception_fp_ieee_invalid_op 0
		.amdhsa_exception_fp_denorm_src 0
		.amdhsa_exception_fp_ieee_div_zero 0
		.amdhsa_exception_fp_ieee_overflow 0
		.amdhsa_exception_fp_ieee_underflow 0
		.amdhsa_exception_fp_ieee_inexact 0
		.amdhsa_exception_int_div_zero 0
	.end_amdhsa_kernel
	.text
.Lfunc_end89:
	.size	naive_conv_ab_nonpacked_wrw_ndhwc_half_double_half, .Lfunc_end89-naive_conv_ab_nonpacked_wrw_ndhwc_half_double_half
                                        ; -- End function
	.set naive_conv_ab_nonpacked_wrw_ndhwc_half_double_half.num_vgpr, 26
	.set naive_conv_ab_nonpacked_wrw_ndhwc_half_double_half.num_agpr, 0
	.set naive_conv_ab_nonpacked_wrw_ndhwc_half_double_half.numbered_sgpr, 97
	.set naive_conv_ab_nonpacked_wrw_ndhwc_half_double_half.num_named_barrier, 0
	.set naive_conv_ab_nonpacked_wrw_ndhwc_half_double_half.private_seg_size, 0
	.set naive_conv_ab_nonpacked_wrw_ndhwc_half_double_half.uses_vcc, 1
	.set naive_conv_ab_nonpacked_wrw_ndhwc_half_double_half.uses_flat_scratch, 0
	.set naive_conv_ab_nonpacked_wrw_ndhwc_half_double_half.has_dyn_sized_stack, 0
	.set naive_conv_ab_nonpacked_wrw_ndhwc_half_double_half.has_recursion, 0
	.set naive_conv_ab_nonpacked_wrw_ndhwc_half_double_half.has_indirect_call, 0
	.section	.AMDGPU.csdata,"",@progbits
; Kernel info:
; codeLenInByte = 2436
; TotalNumSgprs: 99
; NumVgprs: 26
; ScratchSize: 0
; MemoryBound: 0
; FloatMode: 240
; IeeeMode: 1
; LDSByteSize: 0 bytes/workgroup (compile time only)
; SGPRBlocks: 0
; VGPRBlocks: 1
; NumSGPRsForWavesPerEU: 99
; NumVGPRsForWavesPerEU: 26
; NamedBarCnt: 0
; Occupancy: 16
; WaveLimiterHint : 0
; COMPUTE_PGM_RSRC2:SCRATCH_EN: 0
; COMPUTE_PGM_RSRC2:USER_SGPR: 2
; COMPUTE_PGM_RSRC2:TRAP_HANDLER: 0
; COMPUTE_PGM_RSRC2:TGID_X_EN: 1
; COMPUTE_PGM_RSRC2:TGID_Y_EN: 0
; COMPUTE_PGM_RSRC2:TGID_Z_EN: 0
; COMPUTE_PGM_RSRC2:TIDIG_COMP_CNT: 0
	.text
	.protected	naive_conv_ab_packed_wrw_ndhwc_ushort_double_ushort ; -- Begin function naive_conv_ab_packed_wrw_ndhwc_ushort_double_ushort
	.globl	naive_conv_ab_packed_wrw_ndhwc_ushort_double_ushort
	.p2align	8
	.type	naive_conv_ab_packed_wrw_ndhwc_ushort_double_ushort,@function
naive_conv_ab_packed_wrw_ndhwc_ushort_double_ushort: ; @naive_conv_ab_packed_wrw_ndhwc_ushort_double_ushort
; %bb.0:
	s_clause 0x2
	s_load_b512 s[4:19], s[0:1], 0xb8
	s_load_b64 s[2:3], s[0:1], 0x108
	s_load_b128 s[28:31], s[0:1], 0xf8
	s_bfe_u32 s20, ttmp6, 0x4000c
	s_and_b32 s21, ttmp6, 15
	s_add_co_i32 s20, s20, 1
	s_getreg_b32 s22, hwreg(HW_REG_IB_STS2, 6, 4)
	s_mul_i32 s20, ttmp9, s20
	s_mov_b32 s35, 0
	s_add_co_i32 s21, s21, s20
	s_cmp_eq_u32 s22, 0
	s_cselect_b32 s38, ttmp9, s21
	s_mov_b32 s21, exec_lo
	s_wait_kmcnt 0x0
	s_abs_i32 s37, s8
	s_mul_i32 s52, s2, s9
	s_cvt_f32_u32 s20, s37
	s_mul_i32 s56, s52, s31
	s_delay_alu instid0(SALU_CYCLE_1) | instskip(NEXT) | instid1(SALU_CYCLE_1)
	s_mul_i32 s33, s56, s30
	v_rcp_iflag_f32_e32 v1, s20
	v_nop
	s_delay_alu instid0(TRANS32_DEP_1)
	v_readfirstlane_b32 s20, v1
	v_cmpx_gt_i32_e64 s33, v0
	s_cbranch_execz .LBB90_23
; %bb.1:
	s_mul_f32 s34, s20, 0x4f7ffffe
	s_mov_b32 s41, s35
	s_ashr_i32 s39, s38, 31
	s_ashr_i32 s45, s8, 31
	s_cvt_u32_f32 s36, s34
	s_sub_co_i32 s34, 0, s37
	s_xor_b32 s39, s39, s45
	s_load_b256 s[20:27], s[0:1], 0x0
	s_mul_i32 s40, s34, s36
	s_abs_i32 s34, s38
	s_mul_hi_u32 s40, s36, s40
	s_load_b64 s[42:43], s[0:1], 0x20
	s_add_co_i32 s40, s36, s40
	s_mov_b32 s36, s9
	s_mul_u64 s[40:41], s[34:35], s[40:41]
	s_mov_b32 s44, s8
	s_mul_i32 s40, s41, s37
	s_mov_b32 s60, s12
	s_sub_co_i32 s34, s34, s40
	s_add_co_i32 s40, s41, 1
	s_sub_co_i32 s46, s34, s37
	s_cmp_ge_u32 s34, s37
	s_mov_b32 s58, s10
	s_cselect_b32 s40, s40, s41
	s_cselect_b32 s34, s46, s34
	s_add_co_i32 s41, s40, 1
	s_cmp_ge_u32 s34, s37
	s_mov_b32 s46, s30
	s_cselect_b32 s34, s41, s40
	s_ashr_i32 s37, s9, 31
	s_xor_b32 s34, s34, s39
	s_ashr_i32 s47, s30, 31
	s_sub_co_i32 s40, s34, s39
	s_ashr_i32 s39, s31, 31
	s_mul_i32 s30, s40, s8
	s_ashr_i32 s41, s40, 31
	s_sub_co_i32 s48, s38, s30
	s_mov_b32 s38, s31
	s_mul_u64 s[46:47], s[46:47], s[36:37]
	s_mul_u64 s[50:51], s[40:41], s[36:37]
	;; [unrolled: 1-line block ×3, first 2 shown]
	s_ashr_i32 s41, s2, 31
	s_mov_b32 s40, s2
	s_ashr_i32 s49, s48, 31
	s_mul_u64 s[46:47], s[46:47], s[38:39]
	s_add_nc_u64 s[54:55], s[44:45], s[48:49]
	s_mul_u64 s[46:47], s[46:47], s[40:41]
	s_wait_kmcnt 0x0
	v_cmp_neq_f64_e64 s30, s[24:25], 1.0
	s_mul_u64 s[46:47], s[46:47], s[54:55]
	v_cmp_neq_f64_e64 s34, s[26:27], 0
	s_lshl_b64 s[50:51], s[50:51], 1
	s_lshl_b64 s[46:47], s[46:47], 1
	;; [unrolled: 1-line block ×4, first 2 shown]
	s_cmp_lt_i32 s7, 1
	s_add_nc_u64 s[20:21], s[20:21], s[50:51]
	s_cselect_b32 s39, -1, 0
	s_cmp_gt_i32 s10, 0
	s_load_b32 s50, s[0:1], 0x11c
	s_cselect_b32 s74, -1, 0
	s_cmp_gt_i32 s11, 0
	s_wait_xcnt 0x0
	s_add_nc_u64 s[0:1], s[42:43], s[44:45]
	s_cselect_b32 s75, -1, 0
	s_cmp_gt_i32 s12, 0
	s_add_nc_u64 s[42:43], s[0:1], s[48:49]
	s_cselect_b32 s76, -1, 0
	s_abs_i32 s77, s9
	s_abs_i32 s78, s2
	s_cvt_f32_u32 s1, s77
	s_cvt_f32_u32 s51, s78
	s_abs_i32 s80, s52
	s_abs_i32 s82, s31
	v_rcp_iflag_f32_e32 v1, s1
	s_cvt_f32_u32 s31, s82
	s_abs_i32 s83, s56
	s_ashr_i32 s84, s52, 31
	s_cvt_f32_u32 s54, s83
	s_mul_i32 s0, s3, s8
	s_wait_kmcnt 0x0
	s_and_b32 s81, s50, 0xffff
	v_nop
	v_readfirstlane_b32 s1, v1
	v_rcp_iflag_f32_e32 v1, s51
	s_or_b32 s79, s30, s34
	s_sub_co_i32 s34, 0, s77
	s_ashr_i32 s61, s12, 31
	s_mul_f32 s53, s1, 0x4f7ffffe
	s_ashr_i32 s1, s0, 31
	s_mul_i32 s44, s3, s9
	v_nop
	v_readfirstlane_b32 s51, v1
	s_cvt_u32_f32 s30, s53
	s_cvt_f32_u32 s53, s80
	s_ashr_i32 s3, s11, 31
	s_mov_b32 s2, s11
	s_mul_i32 s34, s34, s30
	v_rcp_iflag_f32_e32 v1, s53
	s_mul_f32 s50, s51, 0x4f7ffffe
	s_mul_hi_u32 s34, s30, s34
	s_sub_co_i32 s57, 0, s83
	s_add_co_i32 s30, s30, s34
	s_cvt_u32_f32 s34, s50
	s_sub_co_i32 s50, 0, s78
	v_nop
	v_readfirstlane_b32 s51, v1
	v_rcp_iflag_f32_e32 v1, s31
	s_mul_i32 s50, s50, s34
	s_mul_u64 s[62:63], s[60:61], s[0:1]
	s_mul_hi_u32 s50, s34, s50
	s_mul_f32 s53, s51, 0x4f7ffffe
	s_add_co_i32 s50, s34, s50
	s_ashr_i32 s59, s10, 31
	v_nop
	v_readfirstlane_b32 s55, v1
	v_rcp_iflag_f32_e32 v1, s54
	s_cvt_u32_f32 s34, s53
	s_sub_co_i32 s54, 0, s80
	s_mul_u64 s[2:3], s[62:63], s[2:3]
	s_mul_f32 s53, s55, 0x4f7ffffe
	s_mul_i32 s54, s54, s34
	v_mov_b32_e32 v3, 0
	s_mul_hi_u32 s52, s34, s54
	s_cvt_u32_f32 s55, s53
	v_readfirstlane_b32 s53, v1
	s_add_co_i32 s52, s34, s52
	s_sub_co_i32 s54, 0, s82
	s_ashr_i32 s85, s56, 31
	s_mul_i32 s54, s54, s55
	s_mul_f32 s34, s53, 0x4f7ffffe
	s_mul_hi_u32 s54, s55, s54
	s_mul_u64 s[58:59], s[2:3], s[58:59]
	s_add_nc_u64 s[22:23], s[22:23], s[46:47]
	s_cvt_u32_f32 s34, s34
	s_ashr_i32 s9, s4, 31
	s_mov_b32 s8, s4
	s_ashr_i32 s47, s5, 31
	s_mul_i32 s57, s57, s34
	s_mov_b32 s46, s5
	s_mul_hi_u32 s56, s34, s57
	s_ashr_i32 s49, s6, 31
	s_mov_b32 s48, s6
	s_ashr_i32 s45, s44, 31
	s_mov_b32 s31, s35
	s_mov_b32 s51, s35
	;; [unrolled: 1-line block ×3, first 2 shown]
	s_add_co_i32 s54, s55, s54
	s_mov_b32 s55, s35
	s_add_co_i32 s56, s34, s56
	s_mov_b32 s57, s35
	s_lshl_b64 s[58:59], s[58:59], 1
	s_lshl_b64 s[60:61], s[2:3], 1
	;; [unrolled: 1-line block ×4, first 2 shown]
	s_sub_co_i32 s29, 0, s29
	s_mov_b32 s86, 0
	s_branch .LBB90_3
.LBB90_2:                               ;   in Loop: Header=BB90_3 Depth=1
	v_add_nc_u32_e32 v0, s81, v0
	s_delay_alu instid0(VALU_DEP_1)
	v_cmp_le_i32_e32 vcc_lo, s33, v0
	s_or_b32 s86, vcc_lo, s86
	s_wait_xcnt 0x0
	s_and_not1_b32 exec_lo, exec_lo, s86
	s_cbranch_execz .LBB90_23
.LBB90_3:                               ; =>This Loop Header: Depth=1
                                        ;     Child Loop BB90_8 Depth 2
                                        ;       Child Loop BB90_11 Depth 3
                                        ;         Child Loop BB90_14 Depth 4
                                        ;           Child Loop BB90_17 Depth 5
	v_sub_nc_u32_e32 v1, 0, v0
	s_mov_b32 s34, -1
	s_delay_alu instid0(VALU_DEP_1) | instskip(NEXT) | instid1(VALU_DEP_1)
	v_max_i32_e32 v2, v0, v1
	v_mul_u64_e32 v[4:5], s[30:31], v[2:3]
	v_mul_u64_e32 v[6:7], s[52:53], v[2:3]
	s_delay_alu instid0(VALU_DEP_2) | instskip(NEXT) | instid1(VALU_DEP_2)
	v_mul_lo_u32 v1, v5, s77
	v_mul_lo_u32 v4, v7, s80
	v_add_nc_u32_e32 v8, 1, v5
	s_delay_alu instid0(VALU_DEP_3) | instskip(NEXT) | instid1(VALU_DEP_3)
	v_dual_sub_nc_u32 v6, v2, v1 :: v_dual_ashrrev_i32 v1, 31, v0
	v_sub_nc_u32_e32 v4, v2, v4
	s_delay_alu instid0(VALU_DEP_2) | instskip(SKIP_1) | instid1(VALU_DEP_3)
	v_cmp_le_u32_e32 vcc_lo, s77, v6
	v_add_nc_u32_e32 v9, 1, v7
	v_cmp_le_u32_e64 s0, s80, v4
	v_subrev_nc_u32_e32 v10, s80, v4
	v_cndmask_b32_e32 v5, v5, v8, vcc_lo
	v_subrev_nc_u32_e32 v8, s77, v6
	s_delay_alu instid0(VALU_DEP_4) | instskip(NEXT) | instid1(VALU_DEP_4)
	v_cndmask_b32_e64 v7, v7, v9, s0
	v_dual_cndmask_b32 v4, v4, v10, s0 :: v_dual_bitop2_b32 v9, s37, v1 bitop3:0x14
	s_delay_alu instid0(VALU_DEP_3) | instskip(NEXT) | instid1(VALU_DEP_3)
	v_dual_cndmask_b32 v6, v6, v8, vcc_lo :: v_dual_add_nc_u32 v8, 1, v5
	v_add_nc_u32_e32 v10, 1, v7
	s_delay_alu instid0(VALU_DEP_2) | instskip(NEXT) | instid1(VALU_DEP_3)
	v_cmp_le_u32_e32 vcc_lo, s77, v6
	v_dual_cndmask_b32 v5, v5, v8, vcc_lo :: v_dual_bitop2_b32 v11, s84, v1 bitop3:0x14
	v_cmp_le_u32_e32 vcc_lo, s80, v4
	s_delay_alu instid0(VALU_DEP_2) | instskip(NEXT) | instid1(VALU_DEP_1)
	v_dual_cndmask_b32 v4, v7, v10, vcc_lo :: v_dual_bitop2_b32 v5, v5, v9 bitop3:0x14
	v_dual_sub_nc_u32 v9, v5, v9 :: v_dual_bitop2_b32 v4, v4, v11 bitop3:0x14
	s_delay_alu instid0(VALU_DEP_1) | instskip(NEXT) | instid1(VALU_DEP_2)
	v_dual_mov_b32 v5, v3 :: v_dual_sub_nc_u32 v8, v4, v11
	v_dual_mov_b32 v11, v3 :: v_dual_sub_nc_u32 v4, 0, v9
	s_delay_alu instid0(VALU_DEP_2) | instskip(NEXT) | instid1(VALU_DEP_2)
	v_sub_nc_u32_e32 v6, 0, v8
	v_max_i32_e32 v4, v9, v4
	s_delay_alu instid0(VALU_DEP_2) | instskip(NEXT) | instid1(VALU_DEP_2)
	v_max_i32_e32 v10, v8, v6
	v_mul_u64_e32 v[12:13], s[50:51], v[4:5]
	v_mul_u64_e32 v[6:7], s[56:57], v[2:3]
	s_delay_alu instid0(VALU_DEP_3) | instskip(NEXT) | instid1(VALU_DEP_3)
	v_mul_u64_e32 v[14:15], s[54:55], v[10:11]
	v_mul_lo_u32 v5, v13, s78
	s_delay_alu instid0(VALU_DEP_3) | instskip(NEXT) | instid1(VALU_DEP_3)
	v_mul_lo_u32 v11, v7, s83
	v_mul_lo_u32 v6, v15, s82
	s_delay_alu instid0(VALU_DEP_1) | instskip(NEXT) | instid1(VALU_DEP_1)
	v_dual_sub_nc_u32 v4, v4, v5 :: v_dual_sub_nc_u32 v5, v10, v6
	v_cmp_le_u32_e32 vcc_lo, s78, v4
	s_delay_alu instid0(VALU_DEP_4) | instskip(SKIP_3) | instid1(VALU_DEP_3)
	v_sub_nc_u32_e32 v10, v2, v11
	v_subrev_nc_u32_e32 v2, s78, v4
	v_mul_lo_u32 v11, v9, s36
	v_subrev_nc_u32_e32 v6, s82, v5
	v_cndmask_b32_e32 v2, v4, v2, vcc_lo
	v_subrev_nc_u32_e32 v12, s83, v10
	v_cmp_le_u32_e32 vcc_lo, s82, v5
	v_cmp_le_u32_e64 s3, s83, v10
	s_delay_alu instid0(VALU_DEP_4) | instskip(NEXT) | instid1(VALU_DEP_2)
	v_cmp_le_u32_e64 s2, s78, v2
	v_dual_cndmask_b32 v6, v5, v6, vcc_lo :: v_dual_cndmask_b32 v5, v10, v12, s3
	v_sub_nc_u32_e32 v4, v0, v11
	s_and_not1_b32 vcc_lo, exec_lo, s39
	s_delay_alu instid0(VALU_DEP_2) | instskip(NEXT) | instid1(VALU_DEP_3)
	v_cmp_le_u32_e64 s1, s82, v6
	v_cmp_le_u32_e64 s0, s83, v5
	s_cbranch_vccnz .LBB90_5
; %bb.4:                                ;   in Loop: Header=BB90_3 Depth=1
	v_ashrrev_i32_e32 v5, 31, v4
	s_mov_b32 s34, 0
.LBB90_5:                               ;   in Loop: Header=BB90_3 Depth=1
	v_dual_add_nc_u32 v10, 1, v7 :: v_dual_ashrrev_i32 v9, 31, v9
	v_subrev_nc_u32_e32 v11, s82, v6
	s_and_not1_b32 vcc_lo, exec_lo, s34
	s_delay_alu instid0(VALU_DEP_2) | instskip(SKIP_1) | instid1(VALU_DEP_3)
	v_dual_cndmask_b32 v7, v7, v10, s3 :: v_dual_bitop2_b32 v1, s85, v1 bitop3:0x14
	v_subrev_nc_u32_e32 v10, s78, v2
	v_cndmask_b32_e64 v6, v6, v11, s1
	s_delay_alu instid0(VALU_DEP_2) | instskip(NEXT) | instid1(VALU_DEP_1)
	v_dual_cndmask_b32 v2, v2, v10, s2 :: v_dual_add_nc_u32 v12, 1, v7
	v_dual_ashrrev_i32 v10, 31, v8 :: v_dual_bitop2_b32 v2, v2, v9 bitop3:0x14
	s_delay_alu instid0(VALU_DEP_2) | instskip(NEXT) | instid1(VALU_DEP_1)
	v_cndmask_b32_e64 v7, v7, v12, s0
	v_xor_b32_e32 v12, v7, v1
	s_delay_alu instid0(VALU_DEP_3) | instskip(SKIP_1) | instid1(VALU_DEP_3)
	v_xor_b32_e32 v11, v6, v10
	v_mov_b64_e32 v[6:7], 0
	v_sub_nc_u32_e32 v1, v12, v1
	s_delay_alu instid0(VALU_DEP_3)
	v_dual_sub_nc_u32 v8, v2, v9 :: v_dual_sub_nc_u32 v10, v11, v10
	s_cbranch_vccnz .LBB90_19
; %bb.6:                                ;   in Loop: Header=BB90_3 Depth=1
	s_delay_alu instid0(VALU_DEP_2) | instskip(NEXT) | instid1(VALU_DEP_2)
	v_mul_lo_u32 v9, v1, s16
	v_mul_lo_u32 v11, v10, s17
	s_delay_alu instid0(VALU_DEP_3) | instskip(SKIP_4) | instid1(VALU_DEP_2)
	v_mad_u32 v18, v8, s18, s29
	v_ashrrev_i32_e32 v5, 31, v4
	v_mov_b64_e32 v[6:7], 0
	s_mov_b32 s34, 0
	s_mov_b64 s[2:3], s[42:43]
	v_lshl_add_u64 v[12:13], v[4:5], 1, s[20:21]
	s_branch .LBB90_8
.LBB90_7:                               ;   in Loop: Header=BB90_8 Depth=2
	s_add_co_i32 s34, s34, 1
	s_add_nc_u64 s[2:3], s[2:3], s[58:59]
	s_cmp_eq_u32 s34, s7
	s_cbranch_scc1 .LBB90_19
.LBB90_8:                               ;   Parent Loop BB90_3 Depth=1
                                        ; =>  This Loop Header: Depth=2
                                        ;       Child Loop BB90_11 Depth 3
                                        ;         Child Loop BB90_14 Depth 4
                                        ;           Child Loop BB90_17 Depth 5
	s_and_not1_b32 vcc_lo, exec_lo, s74
	s_cbranch_vccnz .LBB90_7
; %bb.9:                                ;   in Loop: Header=BB90_8 Depth=2
	s_mul_u64 s[66:67], s[34:35], s[8:9]
	s_mov_b32 s1, 0
	s_mov_b64 s[68:69], s[2:3]
	s_branch .LBB90_11
.LBB90_10:                              ;   in Loop: Header=BB90_11 Depth=3
	s_add_co_i32 s1, s1, 1
	s_add_nc_u64 s[68:69], s[68:69], s[60:61]
	s_cmp_eq_u32 s1, s10
	s_cbranch_scc1 .LBB90_7
.LBB90_11:                              ;   Parent Loop BB90_3 Depth=1
                                        ;     Parent Loop BB90_8 Depth=2
                                        ; =>    This Loop Header: Depth=3
                                        ;         Child Loop BB90_14 Depth 4
                                        ;           Child Loop BB90_17 Depth 5
	s_and_not1_b32 vcc_lo, exec_lo, s75
	s_cbranch_vccnz .LBB90_10
; %bb.12:                               ;   in Loop: Header=BB90_11 Depth=3
	s_mul_i32 s0, s1, s13
	s_mov_b32 s87, 0
	s_sub_co_i32 s0, s0, s19
	s_mov_b64 s[70:71], s[68:69]
	v_add_nc_u32_e32 v2, s0, v9
	s_delay_alu instid0(VALU_DEP_1)
	v_add_nc_u64_e32 v[14:15], s[66:67], v[2:3]
	v_cmp_gt_i32_e32 vcc_lo, 0, v2
	v_cmp_le_i32_e64 s0, s4, v2
	s_or_b32 s88, vcc_lo, s0
	v_mul_u64_e32 v[14:15], s[46:47], v[14:15]
	s_branch .LBB90_14
.LBB90_13:                              ;   in Loop: Header=BB90_14 Depth=4
	s_add_co_i32 s87, s87, 1
	s_add_nc_u64 s[70:71], s[70:71], s[62:63]
	s_cmp_eq_u32 s87, s11
	s_cbranch_scc1 .LBB90_10
.LBB90_14:                              ;   Parent Loop BB90_3 Depth=1
                                        ;     Parent Loop BB90_8 Depth=2
                                        ;       Parent Loop BB90_11 Depth=3
                                        ; =>      This Loop Header: Depth=4
                                        ;           Child Loop BB90_17 Depth 5
	s_and_not1_b32 vcc_lo, exec_lo, s76
	s_cbranch_vccnz .LBB90_13
; %bb.15:                               ;   in Loop: Header=BB90_14 Depth=4
	s_mul_i32 s0, s87, s14
	s_mov_b64 s[72:73], s[70:71]
	s_sub_co_i32 s0, s0, s28
	s_mov_b32 s90, s12
	v_add_nc_u32_e32 v2, s0, v11
	s_delay_alu instid0(VALU_DEP_1)
	v_add_nc_u64_e32 v[16:17], v[14:15], v[2:3]
	v_cmp_gt_i32_e32 vcc_lo, 0, v2
	v_cmp_le_i32_e64 s0, s5, v2
	v_mov_b32_e32 v2, v18
	s_or_b32 s0, vcc_lo, s0
	v_mul_u64_e32 v[16:17], s[48:49], v[16:17]
	s_or_b32 s89, s88, s0
	s_branch .LBB90_17
.LBB90_16:                              ;   in Loop: Header=BB90_17 Depth=5
	s_or_b32 exec_lo, exec_lo, s0
	v_add_nc_u32_e32 v2, s15, v2
	s_add_co_i32 s90, s90, -1
	s_add_nc_u64 s[72:73], s[72:73], s[64:65]
	s_cmp_eq_u32 s90, 0
	s_cbranch_scc1 .LBB90_13
.LBB90_17:                              ;   Parent Loop BB90_3 Depth=1
                                        ;     Parent Loop BB90_8 Depth=2
                                        ;       Parent Loop BB90_11 Depth=3
                                        ;         Parent Loop BB90_14 Depth=4
                                        ; =>        This Inner Loop Header: Depth=5
	v_cmp_gt_i32_e32 vcc_lo, 0, v2
	v_cmp_le_i32_e64 s0, s6, v2
	s_or_b32 s0, vcc_lo, s0
	s_delay_alu instid0(SALU_CYCLE_1) | instskip(NEXT) | instid1(SALU_CYCLE_1)
	s_nor_b32 s91, s89, s0
	s_and_saveexec_b32 s0, s91
	s_cbranch_execz .LBB90_16
; %bb.18:                               ;   in Loop: Header=BB90_17 Depth=5
	v_add_nc_u64_e32 v[20:21], v[16:17], v[2:3]
	s_load_u16 s91, s[72:73], 0x0
	s_delay_alu instid0(VALU_DEP_1) | instskip(SKIP_2) | instid1(VALU_DEP_1)
	v_mul_u64_e32 v[20:21], s[44:45], v[20:21]
	s_wait_kmcnt 0x0
	s_lshl_b32 s91, s91, 16
	v_lshl_add_u64 v[20:21], v[20:21], 1, v[12:13]
	global_load_u16 v19, v[20:21], off
	s_wait_xcnt 0x0
	v_cvt_f64_f32_e32 v[20:21], s91
	s_wait_loadcnt 0x0
	v_lshlrev_b32_e32 v19, 16, v19
	s_delay_alu instid0(VALU_DEP_1) | instskip(NEXT) | instid1(VALU_DEP_1)
	v_cvt_f64_f32_e32 v[22:23], v19
	v_fmac_f64_e32 v[6:7], v[22:23], v[20:21]
	s_branch .LBB90_16
.LBB90_19:                              ;   in Loop: Header=BB90_3 Depth=1
	s_delay_alu instid0(VALU_DEP_1) | instskip(SKIP_2) | instid1(VALU_DEP_1)
	v_dual_ashrrev_i32 v11, 31, v10 :: v_dual_ashrrev_i32 v9, 31, v8
	s_and_b32 vcc_lo, exec_lo, s79
	s_mov_b32 s0, -1
	v_mad_nc_i64_i32 v[10:11], v1, s38, v[10:11]
	s_delay_alu instid0(VALU_DEP_1) | instskip(NEXT) | instid1(VALU_DEP_1)
	v_mad_nc_u64_u32 v[8:9], v10, s40, v[8:9]
	v_mad_u32 v1, v11, s40, v9
	s_delay_alu instid0(VALU_DEP_2) | instskip(NEXT) | instid1(VALU_DEP_2)
	v_mad_nc_u64_u32 v[4:5], v8, s36, v[4:5]
	v_mad_u32 v1, v10, s41, v1
	s_delay_alu instid0(VALU_DEP_1) | instskip(NEXT) | instid1(VALU_DEP_1)
	v_mad_u32 v1, v1, s36, v5
	v_mad_u32 v5, v8, s37, v1
	s_cbranch_vccz .LBB90_21
; %bb.20:                               ;   in Loop: Header=BB90_3 Depth=1
	s_delay_alu instid0(VALU_DEP_1) | instskip(SKIP_3) | instid1(VALU_DEP_1)
	v_lshl_add_u64 v[8:9], v[4:5], 1, s[22:23]
	global_load_u16 v1, v[8:9], off
	s_wait_loadcnt 0x0
	v_lshlrev_b32_e32 v1, 16, v1
	v_cvt_f64_f32_e32 v[10:11], v1
	s_delay_alu instid0(VALU_DEP_1) | instskip(NEXT) | instid1(VALU_DEP_1)
	v_mul_f64_e32 v[10:11], s[26:27], v[10:11]
	v_fmac_f64_e32 v[10:11], s[24:25], v[6:7]
	s_delay_alu instid0(VALU_DEP_1) | instskip(NEXT) | instid1(VALU_DEP_1)
	v_cvt_f32_f64_e32 v1, v[10:11]
	v_and_b32_e32 v2, 0x7f800000, v1
	v_and_b32_e32 v10, 0xffff, v1
	v_lshrrev_b32_e32 v1, 16, v1
	s_delay_alu instid0(VALU_DEP_3) | instskip(NEXT) | instid1(VALU_DEP_3)
	v_cmp_eq_u32_e32 vcc_lo, 0x7f800000, v2
	v_cmp_ne_u32_e64 s0, 0, v10
	s_and_b32 s0, vcc_lo, s0
	s_delay_alu instid0(SALU_CYCLE_1) | instskip(SKIP_1) | instid1(VALU_DEP_1)
	v_cndmask_b32_e64 v2, 0, 1, s0
	s_mov_b32 s0, 0
	v_or_b32_e32 v1, v1, v2
	global_store_b16 v[8:9], v1, off
.LBB90_21:                              ;   in Loop: Header=BB90_3 Depth=1
	s_and_not1_b32 vcc_lo, exec_lo, s0
	s_cbranch_vccnz .LBB90_2
; %bb.22:                               ;   in Loop: Header=BB90_3 Depth=1
	s_wait_xcnt 0x0
	v_cvt_f32_f64_e32 v1, v[6:7]
	s_delay_alu instid0(VALU_DEP_2) | instskip(NEXT) | instid1(VALU_DEP_2)
	v_lshl_add_u64 v[4:5], v[4:5], 1, s[22:23]
	v_and_b32_e32 v2, 0x7f800000, v1
	v_and_b32_e32 v6, 0xffff, v1
	v_lshrrev_b32_e32 v1, 16, v1
	s_delay_alu instid0(VALU_DEP_3) | instskip(NEXT) | instid1(VALU_DEP_3)
	v_cmp_eq_u32_e32 vcc_lo, 0x7f800000, v2
	v_cmp_ne_u32_e64 s0, 0, v6
	s_and_b32 s0, vcc_lo, s0
	s_delay_alu instid0(SALU_CYCLE_1) | instskip(NEXT) | instid1(VALU_DEP_1)
	v_cndmask_b32_e64 v2, 0, 1, s0
	v_or_b32_e32 v1, v1, v2
	global_store_b16 v[4:5], v1, off
	s_branch .LBB90_2
.LBB90_23:
	s_endpgm
	.section	.rodata,"a",@progbits
	.p2align	6, 0x0
	.amdhsa_kernel naive_conv_ab_packed_wrw_ndhwc_ushort_double_ushort
		.amdhsa_group_segment_fixed_size 0
		.amdhsa_private_segment_fixed_size 0
		.amdhsa_kernarg_size 528
		.amdhsa_user_sgpr_count 2
		.amdhsa_user_sgpr_dispatch_ptr 0
		.amdhsa_user_sgpr_queue_ptr 0
		.amdhsa_user_sgpr_kernarg_segment_ptr 1
		.amdhsa_user_sgpr_dispatch_id 0
		.amdhsa_user_sgpr_kernarg_preload_length 0
		.amdhsa_user_sgpr_kernarg_preload_offset 0
		.amdhsa_user_sgpr_private_segment_size 0
		.amdhsa_wavefront_size32 1
		.amdhsa_uses_dynamic_stack 0
		.amdhsa_enable_private_segment 0
		.amdhsa_system_sgpr_workgroup_id_x 1
		.amdhsa_system_sgpr_workgroup_id_y 0
		.amdhsa_system_sgpr_workgroup_id_z 0
		.amdhsa_system_sgpr_workgroup_info 0
		.amdhsa_system_vgpr_workitem_id 0
		.amdhsa_next_free_vgpr 24
		.amdhsa_next_free_sgpr 92
		.amdhsa_named_barrier_count 0
		.amdhsa_reserve_vcc 1
		.amdhsa_float_round_mode_32 0
		.amdhsa_float_round_mode_16_64 0
		.amdhsa_float_denorm_mode_32 3
		.amdhsa_float_denorm_mode_16_64 3
		.amdhsa_fp16_overflow 0
		.amdhsa_memory_ordered 1
		.amdhsa_forward_progress 1
		.amdhsa_inst_pref_size 17
		.amdhsa_round_robin_scheduling 0
		.amdhsa_exception_fp_ieee_invalid_op 0
		.amdhsa_exception_fp_denorm_src 0
		.amdhsa_exception_fp_ieee_div_zero 0
		.amdhsa_exception_fp_ieee_overflow 0
		.amdhsa_exception_fp_ieee_underflow 0
		.amdhsa_exception_fp_ieee_inexact 0
		.amdhsa_exception_int_div_zero 0
	.end_amdhsa_kernel
	.text
.Lfunc_end90:
	.size	naive_conv_ab_packed_wrw_ndhwc_ushort_double_ushort, .Lfunc_end90-naive_conv_ab_packed_wrw_ndhwc_ushort_double_ushort
                                        ; -- End function
	.set naive_conv_ab_packed_wrw_ndhwc_ushort_double_ushort.num_vgpr, 24
	.set naive_conv_ab_packed_wrw_ndhwc_ushort_double_ushort.num_agpr, 0
	.set naive_conv_ab_packed_wrw_ndhwc_ushort_double_ushort.numbered_sgpr, 92
	.set naive_conv_ab_packed_wrw_ndhwc_ushort_double_ushort.num_named_barrier, 0
	.set naive_conv_ab_packed_wrw_ndhwc_ushort_double_ushort.private_seg_size, 0
	.set naive_conv_ab_packed_wrw_ndhwc_ushort_double_ushort.uses_vcc, 1
	.set naive_conv_ab_packed_wrw_ndhwc_ushort_double_ushort.uses_flat_scratch, 0
	.set naive_conv_ab_packed_wrw_ndhwc_ushort_double_ushort.has_dyn_sized_stack, 0
	.set naive_conv_ab_packed_wrw_ndhwc_ushort_double_ushort.has_recursion, 0
	.set naive_conv_ab_packed_wrw_ndhwc_ushort_double_ushort.has_indirect_call, 0
	.section	.AMDGPU.csdata,"",@progbits
; Kernel info:
; codeLenInByte = 2104
; TotalNumSgprs: 94
; NumVgprs: 24
; ScratchSize: 0
; MemoryBound: 0
; FloatMode: 240
; IeeeMode: 1
; LDSByteSize: 0 bytes/workgroup (compile time only)
; SGPRBlocks: 0
; VGPRBlocks: 1
; NumSGPRsForWavesPerEU: 94
; NumVGPRsForWavesPerEU: 24
; NamedBarCnt: 0
; Occupancy: 16
; WaveLimiterHint : 0
; COMPUTE_PGM_RSRC2:SCRATCH_EN: 0
; COMPUTE_PGM_RSRC2:USER_SGPR: 2
; COMPUTE_PGM_RSRC2:TRAP_HANDLER: 0
; COMPUTE_PGM_RSRC2:TGID_X_EN: 1
; COMPUTE_PGM_RSRC2:TGID_Y_EN: 0
; COMPUTE_PGM_RSRC2:TGID_Z_EN: 0
; COMPUTE_PGM_RSRC2:TIDIG_COMP_CNT: 0
	.text
	.protected	naive_conv_ab_nonpacked_wrw_ndhwc_ushort_double_ushort ; -- Begin function naive_conv_ab_nonpacked_wrw_ndhwc_ushort_double_ushort
	.globl	naive_conv_ab_nonpacked_wrw_ndhwc_ushort_double_ushort
	.p2align	8
	.type	naive_conv_ab_nonpacked_wrw_ndhwc_ushort_double_ushort,@function
naive_conv_ab_nonpacked_wrw_ndhwc_ushort_double_ushort: ; @naive_conv_ab_nonpacked_wrw_ndhwc_ushort_double_ushort
; %bb.0:
	s_clause 0x2
	s_load_b512 s[4:19], s[0:1], 0xb8
	s_load_b32 s68, s[0:1], 0x108
	s_load_b128 s[28:31], s[0:1], 0xf8
	s_bfe_u32 s2, ttmp6, 0x4000c
	s_and_b32 s3, ttmp6, 15
	s_add_co_i32 s2, s2, 1
	s_getreg_b32 s20, hwreg(HW_REG_IB_STS2, 6, 4)
	s_mul_i32 s2, ttmp9, s2
	s_mov_b32 s35, 0
	s_add_co_i32 s3, s3, s2
	s_cmp_eq_u32 s20, 0
	s_mov_b32 s21, exec_lo
	s_cselect_b32 s69, ttmp9, s3
	s_wait_kmcnt 0x0
	s_abs_i32 s70, s8
	s_mul_i32 s3, s68, s9
	s_cvt_f32_u32 s2, s70
	s_delay_alu instid0(SALU_CYCLE_3) | instskip(SKIP_1) | instid1(SALU_CYCLE_1)
	v_rcp_iflag_f32_e32 v1, s2
	s_mul_i32 s2, s3, s31
	s_mul_i32 s33, s2, s30
	v_nop
	s_delay_alu instid0(TRANS32_DEP_1)
	v_readfirstlane_b32 s20, v1
	v_cmpx_gt_i32_e64 s33, v0
	s_cbranch_execz .LBB91_23
; %bb.1:
	s_mul_f32 s30, s20, 0x4f7ffffe
	s_sub_co_i32 s34, 0, s70
	s_mov_b32 s53, s35
	s_load_b256 s[20:27], s[0:1], 0x0
	s_cvt_u32_f32 s30, s30
	s_ashr_i32 s71, s69, 31
	s_ashr_i32 s74, s8, 31
	v_mov_b32_e32 v3, 0
	s_mul_i32 s36, s34, s30
	s_abs_i32 s34, s69
	s_mul_hi_u32 s36, s30, s36
	s_xor_b32 s71, s71, s74
	s_add_co_i32 s52, s30, s36
	s_load_b512 s[36:51], s[0:1], 0x28
	s_mul_u64 s[72:73], s[34:35], s[52:53]
	s_load_b512 s[52:67], s[0:1], 0x68
	s_mul_i32 s30, s73, s70
	s_load_b64 s[74:75], s[0:1], 0x20
	s_sub_co_i32 s30, s34, s30
	s_add_co_i32 s34, s73, 1
	s_sub_co_i32 s72, s30, s70
	s_cmp_ge_u32 s30, s70
	s_mov_b32 s91, 0
	s_cselect_b32 s34, s34, s73
	s_cselect_b32 s30, s72, s30
	s_add_co_i32 s72, s34, 1
	s_cmp_ge_u32 s30, s70
	s_cselect_b32 s30, s72, s34
	s_wait_kmcnt 0x0
	v_cmp_neq_f64_e64 s34, s[24:25], 1.0
	s_xor_b32 s30, s30, s71
	s_delay_alu instid0(SALU_CYCLE_1)
	s_sub_co_i32 s70, s30, s71
	v_cmp_neq_f64_e64 s30, s[26:27], 0
	s_mul_i32 s8, s70, s8
	s_ashr_i32 s71, s70, 31
	s_sub_co_i32 s72, s69, s8
	s_mul_u64 s[58:59], s[58:59], s[70:71]
	s_ashr_i32 s73, s72, 31
	s_mul_u64 s[38:39], s[38:39], s[70:71]
	s_mul_u64 s[62:63], s[62:63], s[70:71]
	s_lshl_b64 s[70:71], s[58:59], 1
	s_mul_u64 s[56:57], s[56:57], s[72:73]
	s_mul_u64 s[58:59], s[60:61], s[72:73]
	s_lshl_b64 s[38:39], s[38:39], 1
	s_lshl_b64 s[62:63], s[62:63], 1
	s_lshl_b64 s[60:61], s[56:57], 1
	s_lshl_b64 s[72:73], s[58:59], 1
	s_cmp_lt_i32 s7, 1
	s_load_b32 s69, s[0:1], 0x11c
	s_cselect_b32 s8, -1, 0
	s_cmp_gt_i32 s10, 0
	s_add_nc_u64 s[20:21], s[20:21], s[38:39]
	s_cselect_b32 s78, -1, 0
	s_cmp_gt_i32 s11, 0
	s_add_nc_u64 s[38:39], s[74:75], s[62:63]
	;; [unrolled: 3-line block ×3, first 2 shown]
	s_cselect_b32 s80, -1, 0
	s_abs_i32 s81, s9
	s_abs_i32 s82, s68
	s_cvt_f32_u32 s56, s81
	s_cvt_f32_u32 s68, s82
	s_abs_i32 s85, s3
	s_or_b32 s86, s34, s30
	v_rcp_iflag_f32_e32 v1, s56
	s_load_b128 s[56:59], s[0:1], 0xa8
	s_wait_xcnt 0x0
	s_add_nc_u64 s[0:1], s[22:23], s[70:71]
	s_cvt_f32_u32 s30, s85
	s_add_nc_u64 s[22:23], s[0:1], s[60:61]
	v_rcp_iflag_f32_e32 v2, s68
	s_sub_co_i32 s34, 0, s81
	v_readfirstlane_b32 s0, v1
	v_rcp_iflag_f32_e32 v1, s30
	s_abs_i32 s87, s31
	s_abs_i32 s88, s2
	s_sub_co_i32 s31, 0, s82
	s_mul_f32 s0, s0, 0x4f7ffffe
	v_readfirstlane_b32 s1, v2
	s_ashr_i32 s89, s3, 31
	v_readfirstlane_b32 s60, v1
	s_cvt_u32_f32 s0, s0
	s_sub_co_i32 s3, 0, s87
	s_mul_f32 s1, s1, 0x4f7ffffe
	s_wait_kmcnt 0x0
	s_and_b32 s83, s69, 0xffff
	s_mul_i32 s34, s34, s0
	s_ashr_i32 s84, s9, 31
	s_mul_hi_u32 s30, s0, s34
	s_cvt_f32_u32 s34, s87
	s_cvt_u32_f32 s1, s1
	s_add_co_i32 s30, s0, s30
	s_mov_b32 s61, s35
	v_rcp_iflag_f32_e32 v1, s34
	s_mul_f32 s34, s60, 0x4f7ffffe
	s_cvt_f32_u32 s60, s88
	s_mul_i32 s0, s31, s1
	s_mov_b32 s31, s35
	s_mul_hi_u32 s0, s1, s0
	v_rcp_iflag_f32_e32 v2, s60
	v_readfirstlane_b32 s62, v1
	s_cvt_u32_f32 s34, s34
	s_add_co_i32 s60, s1, s0
	s_sub_co_i32 s0, 0, s85
	s_mov_b32 s69, s35
	s_mul_i32 s0, s0, s34
	v_readfirstlane_b32 s63, v2
	s_mul_f32 s1, s62, 0x4f7ffffe
	s_mul_hi_u32 s0, s34, s0
	s_ashr_i32 s90, s2, 31
	s_add_co_i32 s62, s34, s0
	s_cvt_u32_f32 s0, s1
	s_mul_f32 s1, s63, 0x4f7ffffe
	s_sub_co_i32 s34, 0, s88
	s_mov_b32 s63, s35
	s_mul_i32 s3, s3, s0
	s_cvt_u32_f32 s1, s1
	s_mul_hi_u32 s3, s0, s3
	s_mov_b32 s71, s35
	s_add_co_i32 s68, s0, s3
	s_mul_i32 s34, s34, s1
	s_lshl_b64 s[58:59], s[58:59], 1
	s_mul_hi_u32 s0, s1, s34
	s_lshl_b64 s[56:57], s[56:57], 1
	s_add_co_i32 s70, s1, s0
	s_lshl_b64 s[66:67], s[66:67], 1
	s_lshl_b64 s[64:65], s[64:65], 1
	s_sub_co_i32 s29, 0, s29
	s_branch .LBB91_3
.LBB91_2:                               ;   in Loop: Header=BB91_3 Depth=1
	v_add_nc_u32_e32 v0, s83, v0
	s_delay_alu instid0(VALU_DEP_1)
	v_cmp_le_i32_e32 vcc_lo, s33, v0
	s_or_b32 s91, vcc_lo, s91
	s_wait_xcnt 0x0
	s_and_not1_b32 exec_lo, exec_lo, s91
	s_cbranch_execz .LBB91_23
.LBB91_3:                               ; =>This Loop Header: Depth=1
                                        ;     Child Loop BB91_8 Depth 2
                                        ;       Child Loop BB91_11 Depth 3
                                        ;         Child Loop BB91_14 Depth 4
                                        ;           Child Loop BB91_17 Depth 5
	v_sub_nc_u32_e32 v1, 0, v0
	s_mov_b32 s34, -1
	s_delay_alu instid0(VALU_DEP_1) | instskip(NEXT) | instid1(VALU_DEP_1)
	v_max_i32_e32 v2, v0, v1
	v_mul_u64_e32 v[4:5], s[30:31], v[2:3]
	v_mul_u64_e32 v[6:7], s[62:63], v[2:3]
	s_delay_alu instid0(VALU_DEP_2) | instskip(NEXT) | instid1(VALU_DEP_2)
	v_mul_lo_u32 v1, v5, s81
	v_mul_lo_u32 v4, v7, s85
	v_add_nc_u32_e32 v8, 1, v5
	s_delay_alu instid0(VALU_DEP_3) | instskip(NEXT) | instid1(VALU_DEP_3)
	v_dual_sub_nc_u32 v6, v2, v1 :: v_dual_ashrrev_i32 v1, 31, v0
	v_sub_nc_u32_e32 v4, v2, v4
	s_delay_alu instid0(VALU_DEP_2) | instskip(SKIP_1) | instid1(VALU_DEP_3)
	v_cmp_le_u32_e32 vcc_lo, s81, v6
	v_add_nc_u32_e32 v9, 1, v7
	v_cmp_le_u32_e64 s0, s85, v4
	v_subrev_nc_u32_e32 v10, s85, v4
	v_cndmask_b32_e32 v5, v5, v8, vcc_lo
	v_subrev_nc_u32_e32 v8, s81, v6
	s_delay_alu instid0(VALU_DEP_4) | instskip(NEXT) | instid1(VALU_DEP_4)
	v_cndmask_b32_e64 v7, v7, v9, s0
	v_dual_cndmask_b32 v4, v4, v10, s0 :: v_dual_bitop2_b32 v9, s84, v1 bitop3:0x14
	s_delay_alu instid0(VALU_DEP_3) | instskip(NEXT) | instid1(VALU_DEP_3)
	v_dual_cndmask_b32 v6, v6, v8, vcc_lo :: v_dual_add_nc_u32 v8, 1, v5
	v_add_nc_u32_e32 v10, 1, v7
	s_delay_alu instid0(VALU_DEP_2) | instskip(NEXT) | instid1(VALU_DEP_3)
	v_cmp_le_u32_e32 vcc_lo, s81, v6
	v_dual_cndmask_b32 v5, v5, v8, vcc_lo :: v_dual_bitop2_b32 v11, s89, v1 bitop3:0x14
	v_cmp_le_u32_e32 vcc_lo, s85, v4
	s_delay_alu instid0(VALU_DEP_2) | instskip(NEXT) | instid1(VALU_DEP_1)
	v_dual_cndmask_b32 v4, v7, v10, vcc_lo :: v_dual_bitop2_b32 v5, v5, v9 bitop3:0x14
	v_dual_sub_nc_u32 v9, v5, v9 :: v_dual_bitop2_b32 v4, v4, v11 bitop3:0x14
	s_delay_alu instid0(VALU_DEP_1) | instskip(NEXT) | instid1(VALU_DEP_2)
	v_dual_mov_b32 v5, v3 :: v_dual_sub_nc_u32 v8, v4, v11
	v_dual_mov_b32 v11, v3 :: v_dual_sub_nc_u32 v4, 0, v9
	s_delay_alu instid0(VALU_DEP_2) | instskip(NEXT) | instid1(VALU_DEP_2)
	v_sub_nc_u32_e32 v6, 0, v8
	v_max_i32_e32 v4, v9, v4
	s_delay_alu instid0(VALU_DEP_2) | instskip(NEXT) | instid1(VALU_DEP_2)
	v_max_i32_e32 v10, v8, v6
	v_mul_u64_e32 v[12:13], s[60:61], v[4:5]
	v_mul_u64_e32 v[6:7], s[70:71], v[2:3]
	s_delay_alu instid0(VALU_DEP_3) | instskip(NEXT) | instid1(VALU_DEP_3)
	v_mul_u64_e32 v[14:15], s[68:69], v[10:11]
	v_mul_lo_u32 v5, v13, s82
	s_delay_alu instid0(VALU_DEP_3) | instskip(NEXT) | instid1(VALU_DEP_3)
	v_mul_lo_u32 v11, v7, s88
	v_mul_lo_u32 v6, v15, s87
	s_delay_alu instid0(VALU_DEP_1) | instskip(NEXT) | instid1(VALU_DEP_1)
	v_dual_sub_nc_u32 v4, v4, v5 :: v_dual_sub_nc_u32 v5, v10, v6
	v_cmp_le_u32_e32 vcc_lo, s82, v4
	s_delay_alu instid0(VALU_DEP_4) | instskip(SKIP_3) | instid1(VALU_DEP_3)
	v_sub_nc_u32_e32 v10, v2, v11
	v_subrev_nc_u32_e32 v2, s82, v4
	v_mul_lo_u32 v11, v9, s9
	v_subrev_nc_u32_e32 v6, s87, v5
	v_cndmask_b32_e32 v2, v4, v2, vcc_lo
	v_subrev_nc_u32_e32 v12, s88, v10
	v_cmp_le_u32_e32 vcc_lo, s87, v5
	v_cmp_le_u32_e64 s3, s88, v10
	s_delay_alu instid0(VALU_DEP_4) | instskip(NEXT) | instid1(VALU_DEP_2)
	v_cmp_le_u32_e64 s2, s82, v2
	v_dual_cndmask_b32 v6, v5, v6, vcc_lo :: v_dual_cndmask_b32 v5, v10, v12, s3
	v_sub_nc_u32_e32 v4, v0, v11
	s_and_not1_b32 vcc_lo, exec_lo, s8
	s_delay_alu instid0(VALU_DEP_2) | instskip(NEXT) | instid1(VALU_DEP_3)
	v_cmp_le_u32_e64 s1, s87, v6
	v_cmp_le_u32_e64 s0, s88, v5
	s_cbranch_vccnz .LBB91_5
; %bb.4:                                ;   in Loop: Header=BB91_3 Depth=1
	v_ashrrev_i32_e32 v5, 31, v4
	s_mov_b32 s34, 0
.LBB91_5:                               ;   in Loop: Header=BB91_3 Depth=1
	v_dual_add_nc_u32 v10, 1, v7 :: v_dual_ashrrev_i32 v9, 31, v9
	v_subrev_nc_u32_e32 v11, s87, v6
	s_and_not1_b32 vcc_lo, exec_lo, s34
	s_delay_alu instid0(VALU_DEP_2) | instskip(SKIP_1) | instid1(VALU_DEP_3)
	v_dual_cndmask_b32 v7, v7, v10, s3 :: v_dual_bitop2_b32 v1, s90, v1 bitop3:0x14
	v_subrev_nc_u32_e32 v10, s82, v2
	v_cndmask_b32_e64 v6, v6, v11, s1
	s_delay_alu instid0(VALU_DEP_2) | instskip(NEXT) | instid1(VALU_DEP_1)
	v_dual_cndmask_b32 v2, v2, v10, s2 :: v_dual_add_nc_u32 v12, 1, v7
	v_dual_ashrrev_i32 v10, 31, v8 :: v_dual_bitop2_b32 v2, v2, v9 bitop3:0x14
	s_delay_alu instid0(VALU_DEP_2) | instskip(NEXT) | instid1(VALU_DEP_1)
	v_cndmask_b32_e64 v7, v7, v12, s0
	v_xor_b32_e32 v12, v7, v1
	s_delay_alu instid0(VALU_DEP_3) | instskip(SKIP_1) | instid1(VALU_DEP_3)
	v_xor_b32_e32 v11, v6, v10
	v_mov_b64_e32 v[6:7], 0
	v_sub_nc_u32_e32 v1, v12, v1
	s_delay_alu instid0(VALU_DEP_3)
	v_dual_sub_nc_u32 v8, v2, v9 :: v_dual_sub_nc_u32 v18, v11, v10
	s_cbranch_vccnz .LBB91_19
; %bb.6:                                ;   in Loop: Header=BB91_3 Depth=1
	v_ashrrev_i32_e32 v5, 31, v4
	s_delay_alu instid0(VALU_DEP_3) | instskip(NEXT) | instid1(VALU_DEP_3)
	v_mul_lo_u32 v9, v1, s16
	v_mul_lo_u32 v19, v18, s17
	v_mad_u32 v20, v8, s18, s29
	v_mov_b64_e32 v[6:7], 0
	v_mul_u64_e32 v[10:11], s[36:37], v[4:5]
	s_mov_b32 s34, 0
	s_mov_b64 s[2:3], s[38:39]
	s_delay_alu instid0(VALU_DEP_1)
	v_lshl_add_u64 v[10:11], v[10:11], 1, s[20:21]
	s_branch .LBB91_8
.LBB91_7:                               ;   in Loop: Header=BB91_8 Depth=2
	s_add_co_i32 s34, s34, 1
	s_add_nc_u64 s[2:3], s[2:3], s[58:59]
	s_cmp_eq_u32 s34, s7
	s_cbranch_scc1 .LBB91_19
.LBB91_8:                               ;   Parent Loop BB91_3 Depth=1
                                        ; =>  This Loop Header: Depth=2
                                        ;       Child Loop BB91_11 Depth 3
                                        ;         Child Loop BB91_14 Depth 4
                                        ;           Child Loop BB91_17 Depth 5
	s_and_not1_b32 vcc_lo, exec_lo, s78
	s_cbranch_vccnz .LBB91_7
; %bb.9:                                ;   in Loop: Header=BB91_8 Depth=2
	s_mul_u64 s[0:1], s[46:47], s[34:35]
	s_mov_b64 s[72:73], s[2:3]
	v_lshl_add_u64 v[12:13], s[0:1], 1, v[10:11]
	s_mov_b32 s1, 0
	s_branch .LBB91_11
.LBB91_10:                              ;   in Loop: Header=BB91_11 Depth=3
	s_add_co_i32 s1, s1, 1
	s_add_nc_u64 s[72:73], s[72:73], s[56:57]
	s_cmp_eq_u32 s1, s10
	s_cbranch_scc1 .LBB91_7
.LBB91_11:                              ;   Parent Loop BB91_3 Depth=1
                                        ;     Parent Loop BB91_8 Depth=2
                                        ; =>    This Loop Header: Depth=3
                                        ;         Child Loop BB91_14 Depth 4
                                        ;           Child Loop BB91_17 Depth 5
	s_and_not1_b32 vcc_lo, exec_lo, s79
	s_cbranch_vccnz .LBB91_10
; %bb.12:                               ;   in Loop: Header=BB91_11 Depth=3
	s_mul_i32 s0, s1, s13
	s_mov_b32 s92, 0
	s_sub_co_i32 s0, s0, s19
	s_mov_b64 s[74:75], s[72:73]
	v_add_nc_u32_e32 v2, s0, v9
	s_delay_alu instid0(VALU_DEP_1)
	v_mul_u64_e32 v[14:15], s[44:45], v[2:3]
	v_cmp_gt_i32_e32 vcc_lo, 0, v2
	v_cmp_le_i32_e64 s0, s4, v2
	s_or_b32 s93, vcc_lo, s0
	v_lshl_add_u64 v[14:15], v[14:15], 1, v[12:13]
	s_branch .LBB91_14
.LBB91_13:                              ;   in Loop: Header=BB91_14 Depth=4
	s_add_co_i32 s92, s92, 1
	s_add_nc_u64 s[74:75], s[74:75], s[66:67]
	s_cmp_eq_u32 s92, s11
	s_cbranch_scc1 .LBB91_10
.LBB91_14:                              ;   Parent Loop BB91_3 Depth=1
                                        ;     Parent Loop BB91_8 Depth=2
                                        ;       Parent Loop BB91_11 Depth=3
                                        ; =>      This Loop Header: Depth=4
                                        ;           Child Loop BB91_17 Depth 5
	s_and_not1_b32 vcc_lo, exec_lo, s80
	s_cbranch_vccnz .LBB91_13
; %bb.15:                               ;   in Loop: Header=BB91_14 Depth=4
	s_mul_i32 s0, s92, s14
	s_mov_b64 s[76:77], s[74:75]
	s_sub_co_i32 s0, s0, s28
	s_mov_b32 s95, s12
	v_add_nc_u32_e32 v2, s0, v19
	s_delay_alu instid0(VALU_DEP_1) | instskip(SKIP_4) | instid1(SALU_CYCLE_1)
	v_mul_u64_e32 v[16:17], s[42:43], v[2:3]
	v_cmp_gt_i32_e32 vcc_lo, 0, v2
	v_cmp_le_i32_e64 s0, s5, v2
	v_mov_b32_e32 v2, v20
	s_or_b32 s0, vcc_lo, s0
	s_or_b32 s94, s93, s0
	v_lshl_add_u64 v[16:17], v[16:17], 1, v[14:15]
	s_branch .LBB91_17
.LBB91_16:                              ;   in Loop: Header=BB91_17 Depth=5
	s_or_b32 exec_lo, exec_lo, s0
	v_add_nc_u32_e32 v2, s15, v2
	s_add_co_i32 s95, s95, -1
	s_add_nc_u64 s[76:77], s[76:77], s[64:65]
	s_cmp_eq_u32 s95, 0
	s_cbranch_scc1 .LBB91_13
.LBB91_17:                              ;   Parent Loop BB91_3 Depth=1
                                        ;     Parent Loop BB91_8 Depth=2
                                        ;       Parent Loop BB91_11 Depth=3
                                        ;         Parent Loop BB91_14 Depth=4
                                        ; =>        This Inner Loop Header: Depth=5
	v_cmp_gt_i32_e32 vcc_lo, 0, v2
	v_cmp_le_i32_e64 s0, s6, v2
	s_or_b32 s0, vcc_lo, s0
	s_delay_alu instid0(SALU_CYCLE_1) | instskip(NEXT) | instid1(SALU_CYCLE_1)
	s_nor_b32 s96, s94, s0
	s_and_saveexec_b32 s0, s96
	s_cbranch_execz .LBB91_16
; %bb.18:                               ;   in Loop: Header=BB91_17 Depth=5
	v_mul_u64_e32 v[22:23], s[40:41], v[2:3]
	s_load_u16 s96, s[76:77], 0x0
	s_wait_kmcnt 0x0
	s_lshl_b32 s96, s96, 16
	s_delay_alu instid0(VALU_DEP_1)
	v_lshl_add_u64 v[22:23], v[22:23], 1, v[16:17]
	global_load_u16 v21, v[22:23], off
	s_wait_xcnt 0x0
	v_cvt_f64_f32_e32 v[22:23], s96
	s_wait_loadcnt 0x0
	v_lshlrev_b32_e32 v21, 16, v21
	s_delay_alu instid0(VALU_DEP_1) | instskip(NEXT) | instid1(VALU_DEP_1)
	v_cvt_f64_f32_e32 v[24:25], v21
	v_fmac_f64_e32 v[6:7], v[24:25], v[22:23]
	s_branch .LBB91_16
.LBB91_19:                              ;   in Loop: Header=BB91_3 Depth=1
	s_delay_alu instid0(VALU_DEP_1) | instskip(SKIP_2) | instid1(VALU_DEP_1)
	v_ashrrev_i32_e32 v9, 31, v8
	s_and_b32 vcc_lo, exec_lo, s86
	s_mov_b32 s0, -1
	v_mul_u64_e32 v[8:9], s[50:51], v[8:9]
	s_delay_alu instid0(VALU_DEP_1) | instskip(NEXT) | instid1(VALU_DEP_1)
	v_mad_nc_u64_u32 v[8:9], s52, v18, v[8:9]
	v_mad_u32 v2, s53, v18, v9
	v_ashrrev_i32_e32 v9, 31, v18
	s_delay_alu instid0(VALU_DEP_1) | instskip(NEXT) | instid1(VALU_DEP_1)
	v_mad_u32 v9, s52, v9, v2
	v_mad_nc_u64_u32 v[8:9], s54, v1, v[8:9]
	s_delay_alu instid0(VALU_DEP_1) | instskip(SKIP_1) | instid1(VALU_DEP_1)
	v_mad_u32 v2, s55, v1, v9
	v_ashrrev_i32_e32 v1, 31, v1
	v_mad_u32 v9, s54, v1, v2
	s_delay_alu instid0(VALU_DEP_1) | instskip(NEXT) | instid1(VALU_DEP_1)
	v_mad_nc_u64_u32 v[8:9], v4, s48, v[8:9]
	v_mad_u32 v1, v5, s48, v9
	s_delay_alu instid0(VALU_DEP_1)
	v_mad_u32 v9, v4, s49, v1
	s_cbranch_vccz .LBB91_21
; %bb.20:                               ;   in Loop: Header=BB91_3 Depth=1
	s_delay_alu instid0(VALU_DEP_1) | instskip(SKIP_3) | instid1(VALU_DEP_1)
	v_lshl_add_u64 v[4:5], v[8:9], 1, s[22:23]
	global_load_u16 v1, v[4:5], off
	s_wait_loadcnt 0x0
	v_lshlrev_b32_e32 v1, 16, v1
	v_cvt_f64_f32_e32 v[10:11], v1
	s_delay_alu instid0(VALU_DEP_1) | instskip(NEXT) | instid1(VALU_DEP_1)
	v_mul_f64_e32 v[10:11], s[26:27], v[10:11]
	v_fmac_f64_e32 v[10:11], s[24:25], v[6:7]
	s_delay_alu instid0(VALU_DEP_1) | instskip(NEXT) | instid1(VALU_DEP_1)
	v_cvt_f32_f64_e32 v1, v[10:11]
	v_and_b32_e32 v2, 0x7f800000, v1
	v_and_b32_e32 v10, 0xffff, v1
	v_lshrrev_b32_e32 v1, 16, v1
	s_delay_alu instid0(VALU_DEP_3) | instskip(NEXT) | instid1(VALU_DEP_3)
	v_cmp_eq_u32_e32 vcc_lo, 0x7f800000, v2
	v_cmp_ne_u32_e64 s0, 0, v10
	s_and_b32 s0, vcc_lo, s0
	s_delay_alu instid0(SALU_CYCLE_1) | instskip(SKIP_1) | instid1(VALU_DEP_1)
	v_cndmask_b32_e64 v2, 0, 1, s0
	s_mov_b32 s0, 0
	v_or_b32_e32 v1, v1, v2
	global_store_b16 v[4:5], v1, off
.LBB91_21:                              ;   in Loop: Header=BB91_3 Depth=1
	s_and_not1_b32 vcc_lo, exec_lo, s0
	s_cbranch_vccnz .LBB91_2
; %bb.22:                               ;   in Loop: Header=BB91_3 Depth=1
	s_wait_xcnt 0x0
	v_cvt_f32_f64_e32 v1, v[6:7]
	s_delay_alu instid0(VALU_DEP_1) | instskip(SKIP_2) | instid1(VALU_DEP_3)
	v_and_b32_e32 v2, 0x7f800000, v1
	v_and_b32_e32 v4, 0xffff, v1
	v_lshrrev_b32_e32 v1, 16, v1
	v_cmp_eq_u32_e32 vcc_lo, 0x7f800000, v2
	s_delay_alu instid0(VALU_DEP_3) | instskip(SKIP_2) | instid1(SALU_CYCLE_1)
	v_cmp_ne_u32_e64 s0, 0, v4
	v_lshl_add_u64 v[4:5], v[8:9], 1, s[22:23]
	s_and_b32 s0, vcc_lo, s0
	v_cndmask_b32_e64 v2, 0, 1, s0
	s_delay_alu instid0(VALU_DEP_1)
	v_or_b32_e32 v1, v1, v2
	global_store_b16 v[4:5], v1, off
	s_branch .LBB91_2
.LBB91_23:
	s_endpgm
	.section	.rodata,"a",@progbits
	.p2align	6, 0x0
	.amdhsa_kernel naive_conv_ab_nonpacked_wrw_ndhwc_ushort_double_ushort
		.amdhsa_group_segment_fixed_size 0
		.amdhsa_private_segment_fixed_size 0
		.amdhsa_kernarg_size 528
		.amdhsa_user_sgpr_count 2
		.amdhsa_user_sgpr_dispatch_ptr 0
		.amdhsa_user_sgpr_queue_ptr 0
		.amdhsa_user_sgpr_kernarg_segment_ptr 1
		.amdhsa_user_sgpr_dispatch_id 0
		.amdhsa_user_sgpr_kernarg_preload_length 0
		.amdhsa_user_sgpr_kernarg_preload_offset 0
		.amdhsa_user_sgpr_private_segment_size 0
		.amdhsa_wavefront_size32 1
		.amdhsa_uses_dynamic_stack 0
		.amdhsa_enable_private_segment 0
		.amdhsa_system_sgpr_workgroup_id_x 1
		.amdhsa_system_sgpr_workgroup_id_y 0
		.amdhsa_system_sgpr_workgroup_id_z 0
		.amdhsa_system_sgpr_workgroup_info 0
		.amdhsa_system_vgpr_workitem_id 0
		.amdhsa_next_free_vgpr 26
		.amdhsa_next_free_sgpr 97
		.amdhsa_named_barrier_count 0
		.amdhsa_reserve_vcc 1
		.amdhsa_float_round_mode_32 0
		.amdhsa_float_round_mode_16_64 0
		.amdhsa_float_denorm_mode_32 3
		.amdhsa_float_denorm_mode_16_64 3
		.amdhsa_fp16_overflow 0
		.amdhsa_memory_ordered 1
		.amdhsa_forward_progress 1
		.amdhsa_inst_pref_size 17
		.amdhsa_round_robin_scheduling 0
		.amdhsa_exception_fp_ieee_invalid_op 0
		.amdhsa_exception_fp_denorm_src 0
		.amdhsa_exception_fp_ieee_div_zero 0
		.amdhsa_exception_fp_ieee_overflow 0
		.amdhsa_exception_fp_ieee_underflow 0
		.amdhsa_exception_fp_ieee_inexact 0
		.amdhsa_exception_int_div_zero 0
	.end_amdhsa_kernel
	.text
.Lfunc_end91:
	.size	naive_conv_ab_nonpacked_wrw_ndhwc_ushort_double_ushort, .Lfunc_end91-naive_conv_ab_nonpacked_wrw_ndhwc_ushort_double_ushort
                                        ; -- End function
	.set naive_conv_ab_nonpacked_wrw_ndhwc_ushort_double_ushort.num_vgpr, 26
	.set naive_conv_ab_nonpacked_wrw_ndhwc_ushort_double_ushort.num_agpr, 0
	.set naive_conv_ab_nonpacked_wrw_ndhwc_ushort_double_ushort.numbered_sgpr, 97
	.set naive_conv_ab_nonpacked_wrw_ndhwc_ushort_double_ushort.num_named_barrier, 0
	.set naive_conv_ab_nonpacked_wrw_ndhwc_ushort_double_ushort.private_seg_size, 0
	.set naive_conv_ab_nonpacked_wrw_ndhwc_ushort_double_ushort.uses_vcc, 1
	.set naive_conv_ab_nonpacked_wrw_ndhwc_ushort_double_ushort.uses_flat_scratch, 0
	.set naive_conv_ab_nonpacked_wrw_ndhwc_ushort_double_ushort.has_dyn_sized_stack, 0
	.set naive_conv_ab_nonpacked_wrw_ndhwc_ushort_double_ushort.has_recursion, 0
	.set naive_conv_ab_nonpacked_wrw_ndhwc_ushort_double_ushort.has_indirect_call, 0
	.section	.AMDGPU.csdata,"",@progbits
; Kernel info:
; codeLenInByte = 2052
; TotalNumSgprs: 99
; NumVgprs: 26
; ScratchSize: 0
; MemoryBound: 0
; FloatMode: 240
; IeeeMode: 1
; LDSByteSize: 0 bytes/workgroup (compile time only)
; SGPRBlocks: 0
; VGPRBlocks: 1
; NumSGPRsForWavesPerEU: 99
; NumVGPRsForWavesPerEU: 26
; NamedBarCnt: 0
; Occupancy: 16
; WaveLimiterHint : 0
; COMPUTE_PGM_RSRC2:SCRATCH_EN: 0
; COMPUTE_PGM_RSRC2:USER_SGPR: 2
; COMPUTE_PGM_RSRC2:TRAP_HANDLER: 0
; COMPUTE_PGM_RSRC2:TGID_X_EN: 1
; COMPUTE_PGM_RSRC2:TGID_Y_EN: 0
; COMPUTE_PGM_RSRC2:TGID_Z_EN: 0
; COMPUTE_PGM_RSRC2:TIDIG_COMP_CNT: 0
	.text
	.p2alignl 7, 3214868480
	.fill 96, 4, 3214868480
	.section	.AMDGPU.gpr_maximums,"",@progbits
	.set amdgpu.max_num_vgpr, 0
	.set amdgpu.max_num_agpr, 0
	.set amdgpu.max_num_sgpr, 0
	.text
	.type	__hip_cuid_5f7af9eab79a07bf,@object ; @__hip_cuid_5f7af9eab79a07bf
	.section	.bss,"aw",@nobits
	.globl	__hip_cuid_5f7af9eab79a07bf
__hip_cuid_5f7af9eab79a07bf:
	.byte	0                               ; 0x0
	.size	__hip_cuid_5f7af9eab79a07bf, 1

	.ident	"AMD clang version 22.0.0git (https://github.com/RadeonOpenCompute/llvm-project roc-7.2.4 26084 f58b06dce1f9c15707c5f808fd002e18c2accf7e)"
	.section	".note.GNU-stack","",@progbits
	.addrsig
	.addrsig_sym __hip_cuid_5f7af9eab79a07bf
	.amdgpu_metadata
---
amdhsa.kernels:
  - .args:
      - .actual_access:  read_only
        .address_space:  global
        .offset:         0
        .size:           8
        .value_kind:     global_buffer
      - .actual_access:  read_only
        .address_space:  global
        .offset:         8
        .size:           8
        .value_kind:     global_buffer
      - .offset:         16
        .size:           8
        .value_kind:     by_value
      - .offset:         24
        .size:           8
        .value_kind:     by_value
      - .address_space:  global
        .offset:         32
        .size:           8
        .value_kind:     global_buffer
      - .offset:         40
        .size:           40
        .value_kind:     by_value
      - .offset:         80
        .size:           40
        .value_kind:     by_value
      - .offset:         120
        .size:           40
        .value_kind:     by_value
      - .offset:         160
        .size:           4
        .value_kind:     by_value
      - .offset:         164
        .size:           4
        .value_kind:     by_value
      - .offset:         168
        .size:           4
        .value_kind:     by_value
      - .offset:         172
        .size:           4
        .value_kind:     by_value
      - .offset:         176
        .size:           4
        .value_kind:     by_value
      - .offset:         180
        .size:           4
        .value_kind:     by_value
      - .offset:         184
        .size:           4
        .value_kind:     by_value
      - .offset:         188
        .size:           4
        .value_kind:     by_value
      - .offset:         192
        .size:           4
        .value_kind:     by_value
      - .offset:         196
        .size:           4
        .value_kind:     by_value
      - .offset:         200
        .size:           4
        .value_kind:     by_value
      - .offset:         204
        .size:           4
        .value_kind:     by_value
      - .offset:         208
        .size:           4
        .value_kind:     by_value
      - .offset:         212
        .size:           4
        .value_kind:     by_value
      - .offset:         216
        .size:           4
        .value_kind:     by_value
      - .offset:         220
        .size:           4
        .value_kind:     by_value
      - .offset:         224
        .size:           4
        .value_kind:     hidden_block_count_x
      - .offset:         228
        .size:           4
        .value_kind:     hidden_block_count_y
      - .offset:         232
        .size:           4
        .value_kind:     hidden_block_count_z
      - .offset:         236
        .size:           2
        .value_kind:     hidden_group_size_x
      - .offset:         238
        .size:           2
        .value_kind:     hidden_group_size_y
      - .offset:         240
        .size:           2
        .value_kind:     hidden_group_size_z
      - .offset:         242
        .size:           2
        .value_kind:     hidden_remainder_x
      - .offset:         244
        .size:           2
        .value_kind:     hidden_remainder_y
      - .offset:         246
        .size:           2
        .value_kind:     hidden_remainder_z
      - .offset:         264
        .size:           8
        .value_kind:     hidden_global_offset_x
      - .offset:         272
        .size:           8
        .value_kind:     hidden_global_offset_y
      - .offset:         280
        .size:           8
        .value_kind:     hidden_global_offset_z
      - .offset:         288
        .size:           2
        .value_kind:     hidden_grid_dims
    .group_segment_fixed_size: 0
    .kernarg_segment_align: 8
    .kernarg_segment_size: 480
    .language:       OpenCL C
    .language_version:
      - 2
      - 0
    .max_flat_workgroup_size: 1024
    .name:           naive_conv_ab_packed_fwd_nchw_float_double_float
    .private_segment_fixed_size: 0
    .sgpr_count:     57
    .sgpr_spill_count: 0
    .symbol:         naive_conv_ab_packed_fwd_nchw_float_double_float.kd
    .uniform_work_group_size: 1
    .uses_dynamic_stack: false
    .vgpr_count:     16
    .vgpr_spill_count: 0
    .wavefront_size: 32
  - .args:
      - .actual_access:  read_only
        .address_space:  global
        .offset:         0
        .size:           8
        .value_kind:     global_buffer
      - .actual_access:  read_only
        .address_space:  global
        .offset:         8
        .size:           8
        .value_kind:     global_buffer
      - .offset:         16
        .size:           8
        .value_kind:     by_value
      - .offset:         24
        .size:           8
        .value_kind:     by_value
      - .address_space:  global
        .offset:         32
        .size:           8
        .value_kind:     global_buffer
      - .offset:         40
        .size:           40
        .value_kind:     by_value
      - .offset:         80
        .size:           40
        .value_kind:     by_value
      - .offset:         120
        .size:           40
        .value_kind:     by_value
      - .offset:         160
        .size:           4
        .value_kind:     by_value
      - .offset:         164
        .size:           4
        .value_kind:     by_value
      - .offset:         168
        .size:           4
        .value_kind:     by_value
      - .offset:         172
        .size:           4
        .value_kind:     by_value
      - .offset:         176
        .size:           4
        .value_kind:     by_value
      - .offset:         180
        .size:           4
        .value_kind:     by_value
      - .offset:         184
        .size:           4
        .value_kind:     by_value
      - .offset:         188
        .size:           4
        .value_kind:     by_value
      - .offset:         192
        .size:           4
        .value_kind:     by_value
      - .offset:         196
        .size:           4
        .value_kind:     by_value
      - .offset:         200
        .size:           4
        .value_kind:     by_value
      - .offset:         204
        .size:           4
        .value_kind:     by_value
      - .offset:         208
        .size:           4
        .value_kind:     by_value
      - .offset:         212
        .size:           4
        .value_kind:     by_value
      - .offset:         216
        .size:           4
        .value_kind:     by_value
      - .offset:         220
        .size:           4
        .value_kind:     by_value
      - .offset:         224
        .size:           4
        .value_kind:     hidden_block_count_x
      - .offset:         228
        .size:           4
        .value_kind:     hidden_block_count_y
      - .offset:         232
        .size:           4
        .value_kind:     hidden_block_count_z
      - .offset:         236
        .size:           2
        .value_kind:     hidden_group_size_x
      - .offset:         238
        .size:           2
        .value_kind:     hidden_group_size_y
      - .offset:         240
        .size:           2
        .value_kind:     hidden_group_size_z
      - .offset:         242
        .size:           2
        .value_kind:     hidden_remainder_x
      - .offset:         244
        .size:           2
        .value_kind:     hidden_remainder_y
      - .offset:         246
        .size:           2
        .value_kind:     hidden_remainder_z
      - .offset:         264
        .size:           8
        .value_kind:     hidden_global_offset_x
      - .offset:         272
        .size:           8
        .value_kind:     hidden_global_offset_y
      - .offset:         280
        .size:           8
        .value_kind:     hidden_global_offset_z
      - .offset:         288
        .size:           2
        .value_kind:     hidden_grid_dims
    .group_segment_fixed_size: 0
    .kernarg_segment_align: 8
    .kernarg_segment_size: 480
    .language:       OpenCL C
    .language_version:
      - 2
      - 0
    .max_flat_workgroup_size: 1024
    .name:           naive_conv_ab_nonpacked_fwd_nchw_float_double_float
    .private_segment_fixed_size: 0
    .sgpr_count:     71
    .sgpr_spill_count: 0
    .symbol:         naive_conv_ab_nonpacked_fwd_nchw_float_double_float.kd
    .uniform_work_group_size: 1
    .uses_dynamic_stack: false
    .vgpr_count:     16
    .vgpr_spill_count: 0
    .wavefront_size: 32
  - .args:
      - .actual_access:  read_only
        .address_space:  global
        .offset:         0
        .size:           8
        .value_kind:     global_buffer
      - .actual_access:  read_only
        .address_space:  global
        .offset:         8
        .size:           8
        .value_kind:     global_buffer
      - .offset:         16
        .size:           8
        .value_kind:     by_value
      - .offset:         24
        .size:           8
        .value_kind:     by_value
      - .address_space:  global
        .offset:         32
        .size:           8
        .value_kind:     global_buffer
      - .offset:         40
        .size:           40
        .value_kind:     by_value
      - .offset:         80
        .size:           40
        .value_kind:     by_value
      - .offset:         120
        .size:           40
        .value_kind:     by_value
      - .offset:         160
        .size:           4
        .value_kind:     by_value
      - .offset:         164
        .size:           4
        .value_kind:     by_value
      - .offset:         168
        .size:           4
        .value_kind:     by_value
      - .offset:         172
        .size:           4
        .value_kind:     by_value
      - .offset:         176
        .size:           4
        .value_kind:     by_value
      - .offset:         180
        .size:           4
        .value_kind:     by_value
      - .offset:         184
        .size:           4
        .value_kind:     by_value
      - .offset:         188
        .size:           4
        .value_kind:     by_value
      - .offset:         192
        .size:           4
        .value_kind:     by_value
      - .offset:         196
        .size:           4
        .value_kind:     by_value
      - .offset:         200
        .size:           4
        .value_kind:     by_value
      - .offset:         204
        .size:           4
        .value_kind:     by_value
      - .offset:         208
        .size:           4
        .value_kind:     by_value
      - .offset:         212
        .size:           4
        .value_kind:     by_value
      - .offset:         216
        .size:           4
        .value_kind:     by_value
      - .offset:         220
        .size:           4
        .value_kind:     by_value
      - .offset:         224
        .size:           4
        .value_kind:     hidden_block_count_x
      - .offset:         228
        .size:           4
        .value_kind:     hidden_block_count_y
      - .offset:         232
        .size:           4
        .value_kind:     hidden_block_count_z
      - .offset:         236
        .size:           2
        .value_kind:     hidden_group_size_x
      - .offset:         238
        .size:           2
        .value_kind:     hidden_group_size_y
      - .offset:         240
        .size:           2
        .value_kind:     hidden_group_size_z
      - .offset:         242
        .size:           2
        .value_kind:     hidden_remainder_x
      - .offset:         244
        .size:           2
        .value_kind:     hidden_remainder_y
      - .offset:         246
        .size:           2
        .value_kind:     hidden_remainder_z
      - .offset:         264
        .size:           8
        .value_kind:     hidden_global_offset_x
      - .offset:         272
        .size:           8
        .value_kind:     hidden_global_offset_y
      - .offset:         280
        .size:           8
        .value_kind:     hidden_global_offset_z
      - .offset:         288
        .size:           2
        .value_kind:     hidden_grid_dims
    .group_segment_fixed_size: 0
    .kernarg_segment_align: 8
    .kernarg_segment_size: 480
    .language:       OpenCL C
    .language_version:
      - 2
      - 0
    .max_flat_workgroup_size: 1024
    .name:           naive_conv_ab_packed_fwd_nchw_half_double_half
    .private_segment_fixed_size: 0
    .sgpr_count:     57
    .sgpr_spill_count: 0
    .symbol:         naive_conv_ab_packed_fwd_nchw_half_double_half.kd
    .uniform_work_group_size: 1
    .uses_dynamic_stack: false
    .vgpr_count:     16
    .vgpr_spill_count: 0
    .wavefront_size: 32
  - .args:
      - .actual_access:  read_only
        .address_space:  global
        .offset:         0
        .size:           8
        .value_kind:     global_buffer
      - .actual_access:  read_only
        .address_space:  global
        .offset:         8
        .size:           8
        .value_kind:     global_buffer
      - .offset:         16
        .size:           8
        .value_kind:     by_value
      - .offset:         24
        .size:           8
        .value_kind:     by_value
      - .address_space:  global
        .offset:         32
        .size:           8
        .value_kind:     global_buffer
      - .offset:         40
        .size:           40
        .value_kind:     by_value
      - .offset:         80
        .size:           40
        .value_kind:     by_value
      - .offset:         120
        .size:           40
        .value_kind:     by_value
      - .offset:         160
        .size:           4
        .value_kind:     by_value
      - .offset:         164
        .size:           4
        .value_kind:     by_value
      - .offset:         168
        .size:           4
        .value_kind:     by_value
      - .offset:         172
        .size:           4
        .value_kind:     by_value
      - .offset:         176
        .size:           4
        .value_kind:     by_value
      - .offset:         180
        .size:           4
        .value_kind:     by_value
      - .offset:         184
        .size:           4
        .value_kind:     by_value
      - .offset:         188
        .size:           4
        .value_kind:     by_value
      - .offset:         192
        .size:           4
        .value_kind:     by_value
      - .offset:         196
        .size:           4
        .value_kind:     by_value
      - .offset:         200
        .size:           4
        .value_kind:     by_value
      - .offset:         204
        .size:           4
        .value_kind:     by_value
      - .offset:         208
        .size:           4
        .value_kind:     by_value
      - .offset:         212
        .size:           4
        .value_kind:     by_value
      - .offset:         216
        .size:           4
        .value_kind:     by_value
      - .offset:         220
        .size:           4
        .value_kind:     by_value
      - .offset:         224
        .size:           4
        .value_kind:     hidden_block_count_x
      - .offset:         228
        .size:           4
        .value_kind:     hidden_block_count_y
      - .offset:         232
        .size:           4
        .value_kind:     hidden_block_count_z
      - .offset:         236
        .size:           2
        .value_kind:     hidden_group_size_x
      - .offset:         238
        .size:           2
        .value_kind:     hidden_group_size_y
      - .offset:         240
        .size:           2
        .value_kind:     hidden_group_size_z
      - .offset:         242
        .size:           2
        .value_kind:     hidden_remainder_x
      - .offset:         244
        .size:           2
        .value_kind:     hidden_remainder_y
      - .offset:         246
        .size:           2
        .value_kind:     hidden_remainder_z
      - .offset:         264
        .size:           8
        .value_kind:     hidden_global_offset_x
      - .offset:         272
        .size:           8
        .value_kind:     hidden_global_offset_y
      - .offset:         280
        .size:           8
        .value_kind:     hidden_global_offset_z
      - .offset:         288
        .size:           2
        .value_kind:     hidden_grid_dims
    .group_segment_fixed_size: 0
    .kernarg_segment_align: 8
    .kernarg_segment_size: 480
    .language:       OpenCL C
    .language_version:
      - 2
      - 0
    .max_flat_workgroup_size: 1024
    .name:           naive_conv_ab_nonpacked_fwd_nchw_half_double_half
    .private_segment_fixed_size: 0
    .sgpr_count:     71
    .sgpr_spill_count: 0
    .symbol:         naive_conv_ab_nonpacked_fwd_nchw_half_double_half.kd
    .uniform_work_group_size: 1
    .uses_dynamic_stack: false
    .vgpr_count:     16
    .vgpr_spill_count: 0
    .wavefront_size: 32
  - .args:
      - .actual_access:  read_only
        .address_space:  global
        .offset:         0
        .size:           8
        .value_kind:     global_buffer
      - .actual_access:  read_only
        .address_space:  global
        .offset:         8
        .size:           8
        .value_kind:     global_buffer
      - .offset:         16
        .size:           8
        .value_kind:     by_value
      - .offset:         24
        .size:           8
        .value_kind:     by_value
      - .address_space:  global
        .offset:         32
        .size:           8
        .value_kind:     global_buffer
      - .offset:         40
        .size:           40
        .value_kind:     by_value
      - .offset:         80
        .size:           40
        .value_kind:     by_value
      - .offset:         120
        .size:           40
        .value_kind:     by_value
      - .offset:         160
        .size:           4
        .value_kind:     by_value
      - .offset:         164
        .size:           4
        .value_kind:     by_value
      - .offset:         168
        .size:           4
        .value_kind:     by_value
      - .offset:         172
        .size:           4
        .value_kind:     by_value
      - .offset:         176
        .size:           4
        .value_kind:     by_value
      - .offset:         180
        .size:           4
        .value_kind:     by_value
      - .offset:         184
        .size:           4
        .value_kind:     by_value
      - .offset:         188
        .size:           4
        .value_kind:     by_value
      - .offset:         192
        .size:           4
        .value_kind:     by_value
      - .offset:         196
        .size:           4
        .value_kind:     by_value
      - .offset:         200
        .size:           4
        .value_kind:     by_value
      - .offset:         204
        .size:           4
        .value_kind:     by_value
      - .offset:         208
        .size:           4
        .value_kind:     by_value
      - .offset:         212
        .size:           4
        .value_kind:     by_value
      - .offset:         216
        .size:           4
        .value_kind:     by_value
      - .offset:         220
        .size:           4
        .value_kind:     by_value
      - .offset:         224
        .size:           4
        .value_kind:     hidden_block_count_x
      - .offset:         228
        .size:           4
        .value_kind:     hidden_block_count_y
      - .offset:         232
        .size:           4
        .value_kind:     hidden_block_count_z
      - .offset:         236
        .size:           2
        .value_kind:     hidden_group_size_x
      - .offset:         238
        .size:           2
        .value_kind:     hidden_group_size_y
      - .offset:         240
        .size:           2
        .value_kind:     hidden_group_size_z
      - .offset:         242
        .size:           2
        .value_kind:     hidden_remainder_x
      - .offset:         244
        .size:           2
        .value_kind:     hidden_remainder_y
      - .offset:         246
        .size:           2
        .value_kind:     hidden_remainder_z
      - .offset:         264
        .size:           8
        .value_kind:     hidden_global_offset_x
      - .offset:         272
        .size:           8
        .value_kind:     hidden_global_offset_y
      - .offset:         280
        .size:           8
        .value_kind:     hidden_global_offset_z
      - .offset:         288
        .size:           2
        .value_kind:     hidden_grid_dims
    .group_segment_fixed_size: 0
    .kernarg_segment_align: 8
    .kernarg_segment_size: 480
    .language:       OpenCL C
    .language_version:
      - 2
      - 0
    .max_flat_workgroup_size: 1024
    .name:           naive_conv_ab_packed_fwd_nchw_ushort_double_ushort
    .private_segment_fixed_size: 0
    .sgpr_count:     57
    .sgpr_spill_count: 0
    .symbol:         naive_conv_ab_packed_fwd_nchw_ushort_double_ushort.kd
    .uniform_work_group_size: 1
    .uses_dynamic_stack: false
    .vgpr_count:     16
    .vgpr_spill_count: 0
    .wavefront_size: 32
  - .args:
      - .actual_access:  read_only
        .address_space:  global
        .offset:         0
        .size:           8
        .value_kind:     global_buffer
      - .actual_access:  read_only
        .address_space:  global
        .offset:         8
        .size:           8
        .value_kind:     global_buffer
      - .offset:         16
        .size:           8
        .value_kind:     by_value
      - .offset:         24
        .size:           8
        .value_kind:     by_value
      - .address_space:  global
        .offset:         32
        .size:           8
        .value_kind:     global_buffer
      - .offset:         40
        .size:           40
        .value_kind:     by_value
      - .offset:         80
        .size:           40
        .value_kind:     by_value
      - .offset:         120
        .size:           40
        .value_kind:     by_value
      - .offset:         160
        .size:           4
        .value_kind:     by_value
      - .offset:         164
        .size:           4
        .value_kind:     by_value
      - .offset:         168
        .size:           4
        .value_kind:     by_value
      - .offset:         172
        .size:           4
        .value_kind:     by_value
      - .offset:         176
        .size:           4
        .value_kind:     by_value
      - .offset:         180
        .size:           4
        .value_kind:     by_value
      - .offset:         184
        .size:           4
        .value_kind:     by_value
      - .offset:         188
        .size:           4
        .value_kind:     by_value
      - .offset:         192
        .size:           4
        .value_kind:     by_value
      - .offset:         196
        .size:           4
        .value_kind:     by_value
      - .offset:         200
        .size:           4
        .value_kind:     by_value
      - .offset:         204
        .size:           4
        .value_kind:     by_value
      - .offset:         208
        .size:           4
        .value_kind:     by_value
      - .offset:         212
        .size:           4
        .value_kind:     by_value
      - .offset:         216
        .size:           4
        .value_kind:     by_value
      - .offset:         220
        .size:           4
        .value_kind:     by_value
      - .offset:         224
        .size:           4
        .value_kind:     hidden_block_count_x
      - .offset:         228
        .size:           4
        .value_kind:     hidden_block_count_y
      - .offset:         232
        .size:           4
        .value_kind:     hidden_block_count_z
      - .offset:         236
        .size:           2
        .value_kind:     hidden_group_size_x
      - .offset:         238
        .size:           2
        .value_kind:     hidden_group_size_y
      - .offset:         240
        .size:           2
        .value_kind:     hidden_group_size_z
      - .offset:         242
        .size:           2
        .value_kind:     hidden_remainder_x
      - .offset:         244
        .size:           2
        .value_kind:     hidden_remainder_y
      - .offset:         246
        .size:           2
        .value_kind:     hidden_remainder_z
      - .offset:         264
        .size:           8
        .value_kind:     hidden_global_offset_x
      - .offset:         272
        .size:           8
        .value_kind:     hidden_global_offset_y
      - .offset:         280
        .size:           8
        .value_kind:     hidden_global_offset_z
      - .offset:         288
        .size:           2
        .value_kind:     hidden_grid_dims
    .group_segment_fixed_size: 0
    .kernarg_segment_align: 8
    .kernarg_segment_size: 480
    .language:       OpenCL C
    .language_version:
      - 2
      - 0
    .max_flat_workgroup_size: 1024
    .name:           naive_conv_ab_nonpacked_fwd_nchw_ushort_double_ushort
    .private_segment_fixed_size: 0
    .sgpr_count:     71
    .sgpr_spill_count: 0
    .symbol:         naive_conv_ab_nonpacked_fwd_nchw_ushort_double_ushort.kd
    .uniform_work_group_size: 1
    .uses_dynamic_stack: false
    .vgpr_count:     16
    .vgpr_spill_count: 0
    .wavefront_size: 32
  - .args:
      - .actual_access:  read_only
        .address_space:  global
        .offset:         0
        .size:           8
        .value_kind:     global_buffer
      - .actual_access:  read_only
        .address_space:  global
        .offset:         8
        .size:           8
        .value_kind:     global_buffer
      - .offset:         16
        .size:           8
        .value_kind:     by_value
      - .offset:         24
        .size:           8
        .value_kind:     by_value
      - .address_space:  global
        .offset:         32
        .size:           8
        .value_kind:     global_buffer
      - .offset:         40
        .size:           40
        .value_kind:     by_value
      - .offset:         80
        .size:           40
        .value_kind:     by_value
      - .offset:         120
        .size:           40
        .value_kind:     by_value
      - .offset:         160
        .size:           4
        .value_kind:     by_value
      - .offset:         164
        .size:           4
        .value_kind:     by_value
      - .offset:         168
        .size:           4
        .value_kind:     by_value
      - .offset:         172
        .size:           4
        .value_kind:     by_value
      - .offset:         176
        .size:           4
        .value_kind:     by_value
      - .offset:         180
        .size:           4
        .value_kind:     by_value
      - .offset:         184
        .size:           4
        .value_kind:     by_value
      - .offset:         188
        .size:           4
        .value_kind:     by_value
      - .offset:         192
        .size:           4
        .value_kind:     by_value
      - .offset:         196
        .size:           4
        .value_kind:     by_value
      - .offset:         200
        .size:           4
        .value_kind:     by_value
      - .offset:         204
        .size:           4
        .value_kind:     by_value
      - .offset:         208
        .size:           4
        .value_kind:     by_value
      - .offset:         212
        .size:           4
        .value_kind:     by_value
      - .offset:         216
        .size:           4
        .value_kind:     by_value
      - .offset:         220
        .size:           4
        .value_kind:     by_value
      - .offset:         224
        .size:           4
        .value_kind:     hidden_block_count_x
      - .offset:         228
        .size:           4
        .value_kind:     hidden_block_count_y
      - .offset:         232
        .size:           4
        .value_kind:     hidden_block_count_z
      - .offset:         236
        .size:           2
        .value_kind:     hidden_group_size_x
      - .offset:         238
        .size:           2
        .value_kind:     hidden_group_size_y
      - .offset:         240
        .size:           2
        .value_kind:     hidden_group_size_z
      - .offset:         242
        .size:           2
        .value_kind:     hidden_remainder_x
      - .offset:         244
        .size:           2
        .value_kind:     hidden_remainder_y
      - .offset:         246
        .size:           2
        .value_kind:     hidden_remainder_z
      - .offset:         264
        .size:           8
        .value_kind:     hidden_global_offset_x
      - .offset:         272
        .size:           8
        .value_kind:     hidden_global_offset_y
      - .offset:         280
        .size:           8
        .value_kind:     hidden_global_offset_z
      - .offset:         288
        .size:           2
        .value_kind:     hidden_grid_dims
    .group_segment_fixed_size: 0
    .kernarg_segment_align: 8
    .kernarg_segment_size: 480
    .language:       OpenCL C
    .language_version:
      - 2
      - 0
    .max_flat_workgroup_size: 1024
    .name:           naive_conv_ab_packed_fwd_nchw_int8_t_int32_t_int8_t
    .private_segment_fixed_size: 0
    .sgpr_count:     65
    .sgpr_spill_count: 0
    .symbol:         naive_conv_ab_packed_fwd_nchw_int8_t_int32_t_int8_t.kd
    .uniform_work_group_size: 1
    .uses_dynamic_stack: false
    .vgpr_count:     14
    .vgpr_spill_count: 0
    .wavefront_size: 32
  - .args:
      - .actual_access:  read_only
        .address_space:  global
        .offset:         0
        .size:           8
        .value_kind:     global_buffer
      - .actual_access:  read_only
        .address_space:  global
        .offset:         8
        .size:           8
        .value_kind:     global_buffer
      - .offset:         16
        .size:           8
        .value_kind:     by_value
      - .offset:         24
        .size:           8
        .value_kind:     by_value
      - .address_space:  global
        .offset:         32
        .size:           8
        .value_kind:     global_buffer
      - .offset:         40
        .size:           40
        .value_kind:     by_value
      - .offset:         80
        .size:           40
        .value_kind:     by_value
      - .offset:         120
        .size:           40
        .value_kind:     by_value
      - .offset:         160
        .size:           4
        .value_kind:     by_value
      - .offset:         164
        .size:           4
        .value_kind:     by_value
      - .offset:         168
        .size:           4
        .value_kind:     by_value
      - .offset:         172
        .size:           4
        .value_kind:     by_value
      - .offset:         176
        .size:           4
        .value_kind:     by_value
      - .offset:         180
        .size:           4
        .value_kind:     by_value
      - .offset:         184
        .size:           4
        .value_kind:     by_value
      - .offset:         188
        .size:           4
        .value_kind:     by_value
      - .offset:         192
        .size:           4
        .value_kind:     by_value
      - .offset:         196
        .size:           4
        .value_kind:     by_value
      - .offset:         200
        .size:           4
        .value_kind:     by_value
      - .offset:         204
        .size:           4
        .value_kind:     by_value
      - .offset:         208
        .size:           4
        .value_kind:     by_value
      - .offset:         212
        .size:           4
        .value_kind:     by_value
      - .offset:         216
        .size:           4
        .value_kind:     by_value
      - .offset:         220
        .size:           4
        .value_kind:     by_value
      - .offset:         224
        .size:           4
        .value_kind:     hidden_block_count_x
      - .offset:         228
        .size:           4
        .value_kind:     hidden_block_count_y
      - .offset:         232
        .size:           4
        .value_kind:     hidden_block_count_z
      - .offset:         236
        .size:           2
        .value_kind:     hidden_group_size_x
      - .offset:         238
        .size:           2
        .value_kind:     hidden_group_size_y
      - .offset:         240
        .size:           2
        .value_kind:     hidden_group_size_z
      - .offset:         242
        .size:           2
        .value_kind:     hidden_remainder_x
      - .offset:         244
        .size:           2
        .value_kind:     hidden_remainder_y
      - .offset:         246
        .size:           2
        .value_kind:     hidden_remainder_z
      - .offset:         264
        .size:           8
        .value_kind:     hidden_global_offset_x
      - .offset:         272
        .size:           8
        .value_kind:     hidden_global_offset_y
      - .offset:         280
        .size:           8
        .value_kind:     hidden_global_offset_z
      - .offset:         288
        .size:           2
        .value_kind:     hidden_grid_dims
    .group_segment_fixed_size: 0
    .kernarg_segment_align: 8
    .kernarg_segment_size: 480
    .language:       OpenCL C
    .language_version:
      - 2
      - 0
    .max_flat_workgroup_size: 1024
    .name:           naive_conv_ab_nonpacked_fwd_nchw_int8_t_int32_t_int8_t
    .private_segment_fixed_size: 0
    .sgpr_count:     72
    .sgpr_spill_count: 0
    .symbol:         naive_conv_ab_nonpacked_fwd_nchw_int8_t_int32_t_int8_t.kd
    .uniform_work_group_size: 1
    .uses_dynamic_stack: false
    .vgpr_count:     14
    .vgpr_spill_count: 0
    .wavefront_size: 32
  - .args:
      - .actual_access:  read_only
        .address_space:  global
        .offset:         0
        .size:           8
        .value_kind:     global_buffer
      - .actual_access:  read_only
        .address_space:  global
        .offset:         8
        .size:           8
        .value_kind:     global_buffer
      - .offset:         16
        .size:           8
        .value_kind:     by_value
      - .offset:         24
        .size:           8
        .value_kind:     by_value
      - .address_space:  global
        .offset:         32
        .size:           8
        .value_kind:     global_buffer
      - .offset:         40
        .size:           40
        .value_kind:     by_value
      - .offset:         80
        .size:           40
        .value_kind:     by_value
      - .offset:         120
        .size:           40
        .value_kind:     by_value
      - .offset:         160
        .size:           4
        .value_kind:     by_value
      - .offset:         164
        .size:           4
        .value_kind:     by_value
      - .offset:         168
        .size:           4
        .value_kind:     by_value
      - .offset:         172
        .size:           4
        .value_kind:     by_value
      - .offset:         176
        .size:           4
        .value_kind:     by_value
      - .offset:         180
        .size:           4
        .value_kind:     by_value
      - .offset:         184
        .size:           4
        .value_kind:     by_value
      - .offset:         188
        .size:           4
        .value_kind:     by_value
      - .offset:         192
        .size:           4
        .value_kind:     by_value
      - .offset:         196
        .size:           4
        .value_kind:     by_value
      - .offset:         200
        .size:           4
        .value_kind:     by_value
      - .offset:         204
        .size:           4
        .value_kind:     by_value
      - .offset:         208
        .size:           4
        .value_kind:     by_value
      - .offset:         212
        .size:           4
        .value_kind:     by_value
      - .offset:         216
        .size:           4
        .value_kind:     by_value
      - .offset:         220
        .size:           4
        .value_kind:     by_value
      - .offset:         224
        .size:           4
        .value_kind:     hidden_block_count_x
      - .offset:         228
        .size:           4
        .value_kind:     hidden_block_count_y
      - .offset:         232
        .size:           4
        .value_kind:     hidden_block_count_z
      - .offset:         236
        .size:           2
        .value_kind:     hidden_group_size_x
      - .offset:         238
        .size:           2
        .value_kind:     hidden_group_size_y
      - .offset:         240
        .size:           2
        .value_kind:     hidden_group_size_z
      - .offset:         242
        .size:           2
        .value_kind:     hidden_remainder_x
      - .offset:         244
        .size:           2
        .value_kind:     hidden_remainder_y
      - .offset:         246
        .size:           2
        .value_kind:     hidden_remainder_z
      - .offset:         264
        .size:           8
        .value_kind:     hidden_global_offset_x
      - .offset:         272
        .size:           8
        .value_kind:     hidden_global_offset_y
      - .offset:         280
        .size:           8
        .value_kind:     hidden_global_offset_z
      - .offset:         288
        .size:           2
        .value_kind:     hidden_grid_dims
    .group_segment_fixed_size: 0
    .kernarg_segment_align: 8
    .kernarg_segment_size: 480
    .language:       OpenCL C
    .language_version:
      - 2
      - 0
    .max_flat_workgroup_size: 1024
    .name:           naive_conv_ab_packed_fwd_nchw_int8_t_int32_t_int32_t
    .private_segment_fixed_size: 0
    .sgpr_count:     54
    .sgpr_spill_count: 0
    .symbol:         naive_conv_ab_packed_fwd_nchw_int8_t_int32_t_int32_t.kd
    .uniform_work_group_size: 1
    .uses_dynamic_stack: false
    .vgpr_count:     14
    .vgpr_spill_count: 0
    .wavefront_size: 32
  - .args:
      - .actual_access:  read_only
        .address_space:  global
        .offset:         0
        .size:           8
        .value_kind:     global_buffer
      - .actual_access:  read_only
        .address_space:  global
        .offset:         8
        .size:           8
        .value_kind:     global_buffer
      - .offset:         16
        .size:           8
        .value_kind:     by_value
      - .offset:         24
        .size:           8
        .value_kind:     by_value
      - .address_space:  global
        .offset:         32
        .size:           8
        .value_kind:     global_buffer
      - .offset:         40
        .size:           40
        .value_kind:     by_value
      - .offset:         80
        .size:           40
        .value_kind:     by_value
      - .offset:         120
        .size:           40
        .value_kind:     by_value
      - .offset:         160
        .size:           4
        .value_kind:     by_value
      - .offset:         164
        .size:           4
        .value_kind:     by_value
      - .offset:         168
        .size:           4
        .value_kind:     by_value
      - .offset:         172
        .size:           4
        .value_kind:     by_value
      - .offset:         176
        .size:           4
        .value_kind:     by_value
      - .offset:         180
        .size:           4
        .value_kind:     by_value
      - .offset:         184
        .size:           4
        .value_kind:     by_value
      - .offset:         188
        .size:           4
        .value_kind:     by_value
      - .offset:         192
        .size:           4
        .value_kind:     by_value
      - .offset:         196
        .size:           4
        .value_kind:     by_value
      - .offset:         200
        .size:           4
        .value_kind:     by_value
      - .offset:         204
        .size:           4
        .value_kind:     by_value
      - .offset:         208
        .size:           4
        .value_kind:     by_value
      - .offset:         212
        .size:           4
        .value_kind:     by_value
      - .offset:         216
        .size:           4
        .value_kind:     by_value
      - .offset:         220
        .size:           4
        .value_kind:     by_value
      - .offset:         224
        .size:           4
        .value_kind:     hidden_block_count_x
      - .offset:         228
        .size:           4
        .value_kind:     hidden_block_count_y
      - .offset:         232
        .size:           4
        .value_kind:     hidden_block_count_z
      - .offset:         236
        .size:           2
        .value_kind:     hidden_group_size_x
      - .offset:         238
        .size:           2
        .value_kind:     hidden_group_size_y
      - .offset:         240
        .size:           2
        .value_kind:     hidden_group_size_z
      - .offset:         242
        .size:           2
        .value_kind:     hidden_remainder_x
      - .offset:         244
        .size:           2
        .value_kind:     hidden_remainder_y
      - .offset:         246
        .size:           2
        .value_kind:     hidden_remainder_z
      - .offset:         264
        .size:           8
        .value_kind:     hidden_global_offset_x
      - .offset:         272
        .size:           8
        .value_kind:     hidden_global_offset_y
      - .offset:         280
        .size:           8
        .value_kind:     hidden_global_offset_z
      - .offset:         288
        .size:           2
        .value_kind:     hidden_grid_dims
    .group_segment_fixed_size: 0
    .kernarg_segment_align: 8
    .kernarg_segment_size: 480
    .language:       OpenCL C
    .language_version:
      - 2
      - 0
    .max_flat_workgroup_size: 1024
    .name:           naive_conv_ab_nonpacked_fwd_nchw_int8_t_int32_t_int32_t
    .private_segment_fixed_size: 0
    .sgpr_count:     72
    .sgpr_spill_count: 0
    .symbol:         naive_conv_ab_nonpacked_fwd_nchw_int8_t_int32_t_int32_t.kd
    .uniform_work_group_size: 1
    .uses_dynamic_stack: false
    .vgpr_count:     14
    .vgpr_spill_count: 0
    .wavefront_size: 32
  - .args:
      - .actual_access:  read_only
        .address_space:  global
        .offset:         0
        .size:           8
        .value_kind:     global_buffer
      - .actual_access:  read_only
        .address_space:  global
        .offset:         8
        .size:           8
        .value_kind:     global_buffer
      - .offset:         16
        .size:           8
        .value_kind:     by_value
      - .offset:         24
        .size:           8
        .value_kind:     by_value
      - .address_space:  global
        .offset:         32
        .size:           8
        .value_kind:     global_buffer
      - .offset:         40
        .size:           40
        .value_kind:     by_value
      - .offset:         80
        .size:           40
        .value_kind:     by_value
      - .offset:         120
        .size:           40
        .value_kind:     by_value
      - .offset:         160
        .size:           4
        .value_kind:     by_value
      - .offset:         164
        .size:           4
        .value_kind:     by_value
      - .offset:         168
        .size:           4
        .value_kind:     by_value
      - .offset:         172
        .size:           4
        .value_kind:     by_value
      - .offset:         176
        .size:           4
        .value_kind:     by_value
      - .offset:         180
        .size:           4
        .value_kind:     by_value
      - .offset:         184
        .size:           4
        .value_kind:     by_value
      - .offset:         188
        .size:           4
        .value_kind:     by_value
      - .offset:         192
        .size:           4
        .value_kind:     by_value
      - .offset:         196
        .size:           4
        .value_kind:     by_value
      - .offset:         200
        .size:           4
        .value_kind:     by_value
      - .offset:         204
        .size:           4
        .value_kind:     by_value
      - .offset:         208
        .size:           4
        .value_kind:     by_value
      - .offset:         212
        .size:           4
        .value_kind:     by_value
      - .offset:         216
        .size:           4
        .value_kind:     by_value
      - .offset:         220
        .size:           4
        .value_kind:     by_value
      - .offset:         224
        .size:           4
        .value_kind:     hidden_block_count_x
      - .offset:         228
        .size:           4
        .value_kind:     hidden_block_count_y
      - .offset:         232
        .size:           4
        .value_kind:     hidden_block_count_z
      - .offset:         236
        .size:           2
        .value_kind:     hidden_group_size_x
      - .offset:         238
        .size:           2
        .value_kind:     hidden_group_size_y
      - .offset:         240
        .size:           2
        .value_kind:     hidden_group_size_z
      - .offset:         242
        .size:           2
        .value_kind:     hidden_remainder_x
      - .offset:         244
        .size:           2
        .value_kind:     hidden_remainder_y
      - .offset:         246
        .size:           2
        .value_kind:     hidden_remainder_z
      - .offset:         264
        .size:           8
        .value_kind:     hidden_global_offset_x
      - .offset:         272
        .size:           8
        .value_kind:     hidden_global_offset_y
      - .offset:         280
        .size:           8
        .value_kind:     hidden_global_offset_z
      - .offset:         288
        .size:           2
        .value_kind:     hidden_grid_dims
    .group_segment_fixed_size: 0
    .kernarg_segment_align: 8
    .kernarg_segment_size: 480
    .language:       OpenCL C
    .language_version:
      - 2
      - 0
    .max_flat_workgroup_size: 1024
    .name:           naive_conv_ab_packed_fwd_nchw_int8_t_int32_t_float
    .private_segment_fixed_size: 0
    .sgpr_count:     54
    .sgpr_spill_count: 0
    .symbol:         naive_conv_ab_packed_fwd_nchw_int8_t_int32_t_float.kd
    .uniform_work_group_size: 1
    .uses_dynamic_stack: false
    .vgpr_count:     14
    .vgpr_spill_count: 0
    .wavefront_size: 32
  - .args:
      - .actual_access:  read_only
        .address_space:  global
        .offset:         0
        .size:           8
        .value_kind:     global_buffer
      - .actual_access:  read_only
        .address_space:  global
        .offset:         8
        .size:           8
        .value_kind:     global_buffer
      - .offset:         16
        .size:           8
        .value_kind:     by_value
      - .offset:         24
        .size:           8
        .value_kind:     by_value
      - .address_space:  global
        .offset:         32
        .size:           8
        .value_kind:     global_buffer
      - .offset:         40
        .size:           40
        .value_kind:     by_value
      - .offset:         80
        .size:           40
        .value_kind:     by_value
      - .offset:         120
        .size:           40
        .value_kind:     by_value
      - .offset:         160
        .size:           4
        .value_kind:     by_value
      - .offset:         164
        .size:           4
        .value_kind:     by_value
      - .offset:         168
        .size:           4
        .value_kind:     by_value
      - .offset:         172
        .size:           4
        .value_kind:     by_value
      - .offset:         176
        .size:           4
        .value_kind:     by_value
      - .offset:         180
        .size:           4
        .value_kind:     by_value
      - .offset:         184
        .size:           4
        .value_kind:     by_value
      - .offset:         188
        .size:           4
        .value_kind:     by_value
      - .offset:         192
        .size:           4
        .value_kind:     by_value
      - .offset:         196
        .size:           4
        .value_kind:     by_value
      - .offset:         200
        .size:           4
        .value_kind:     by_value
      - .offset:         204
        .size:           4
        .value_kind:     by_value
      - .offset:         208
        .size:           4
        .value_kind:     by_value
      - .offset:         212
        .size:           4
        .value_kind:     by_value
      - .offset:         216
        .size:           4
        .value_kind:     by_value
      - .offset:         220
        .size:           4
        .value_kind:     by_value
      - .offset:         224
        .size:           4
        .value_kind:     hidden_block_count_x
      - .offset:         228
        .size:           4
        .value_kind:     hidden_block_count_y
      - .offset:         232
        .size:           4
        .value_kind:     hidden_block_count_z
      - .offset:         236
        .size:           2
        .value_kind:     hidden_group_size_x
      - .offset:         238
        .size:           2
        .value_kind:     hidden_group_size_y
      - .offset:         240
        .size:           2
        .value_kind:     hidden_group_size_z
      - .offset:         242
        .size:           2
        .value_kind:     hidden_remainder_x
      - .offset:         244
        .size:           2
        .value_kind:     hidden_remainder_y
      - .offset:         246
        .size:           2
        .value_kind:     hidden_remainder_z
      - .offset:         264
        .size:           8
        .value_kind:     hidden_global_offset_x
      - .offset:         272
        .size:           8
        .value_kind:     hidden_global_offset_y
      - .offset:         280
        .size:           8
        .value_kind:     hidden_global_offset_z
      - .offset:         288
        .size:           2
        .value_kind:     hidden_grid_dims
    .group_segment_fixed_size: 0
    .kernarg_segment_align: 8
    .kernarg_segment_size: 480
    .language:       OpenCL C
    .language_version:
      - 2
      - 0
    .max_flat_workgroup_size: 1024
    .name:           naive_conv_ab_nonpacked_fwd_nchw_int8_t_int32_t_float
    .private_segment_fixed_size: 0
    .sgpr_count:     72
    .sgpr_spill_count: 0
    .symbol:         naive_conv_ab_nonpacked_fwd_nchw_int8_t_int32_t_float.kd
    .uniform_work_group_size: 1
    .uses_dynamic_stack: false
    .vgpr_count:     14
    .vgpr_spill_count: 0
    .wavefront_size: 32
  - .args:
      - .actual_access:  read_only
        .address_space:  global
        .offset:         0
        .size:           8
        .value_kind:     global_buffer
      - .actual_access:  read_only
        .address_space:  global
        .offset:         8
        .size:           8
        .value_kind:     global_buffer
      - .offset:         16
        .size:           8
        .value_kind:     by_value
      - .offset:         24
        .size:           8
        .value_kind:     by_value
      - .address_space:  global
        .offset:         32
        .size:           8
        .value_kind:     global_buffer
      - .offset:         40
        .size:           40
        .value_kind:     by_value
      - .offset:         80
        .size:           40
        .value_kind:     by_value
      - .offset:         120
        .size:           40
        .value_kind:     by_value
      - .offset:         160
        .size:           4
        .value_kind:     by_value
      - .offset:         164
        .size:           4
        .value_kind:     by_value
      - .offset:         168
        .size:           4
        .value_kind:     by_value
      - .offset:         172
        .size:           4
        .value_kind:     by_value
      - .offset:         176
        .size:           4
        .value_kind:     by_value
      - .offset:         180
        .size:           4
        .value_kind:     by_value
      - .offset:         184
        .size:           4
        .value_kind:     by_value
      - .offset:         188
        .size:           4
        .value_kind:     by_value
      - .offset:         192
        .size:           4
        .value_kind:     by_value
      - .offset:         196
        .size:           4
        .value_kind:     by_value
      - .offset:         200
        .size:           4
        .value_kind:     by_value
      - .offset:         204
        .size:           4
        .value_kind:     by_value
      - .offset:         208
        .size:           4
        .value_kind:     by_value
      - .offset:         212
        .size:           4
        .value_kind:     by_value
      - .offset:         216
        .size:           4
        .value_kind:     by_value
      - .offset:         220
        .size:           4
        .value_kind:     by_value
      - .offset:         224
        .size:           4
        .value_kind:     hidden_block_count_x
      - .offset:         228
        .size:           4
        .value_kind:     hidden_block_count_y
      - .offset:         232
        .size:           4
        .value_kind:     hidden_block_count_z
      - .offset:         236
        .size:           2
        .value_kind:     hidden_group_size_x
      - .offset:         238
        .size:           2
        .value_kind:     hidden_group_size_y
      - .offset:         240
        .size:           2
        .value_kind:     hidden_group_size_z
      - .offset:         242
        .size:           2
        .value_kind:     hidden_remainder_x
      - .offset:         244
        .size:           2
        .value_kind:     hidden_remainder_y
      - .offset:         246
        .size:           2
        .value_kind:     hidden_remainder_z
      - .offset:         264
        .size:           8
        .value_kind:     hidden_global_offset_x
      - .offset:         272
        .size:           8
        .value_kind:     hidden_global_offset_y
      - .offset:         280
        .size:           8
        .value_kind:     hidden_global_offset_z
      - .offset:         288
        .size:           2
        .value_kind:     hidden_grid_dims
    .group_segment_fixed_size: 0
    .kernarg_segment_align: 8
    .kernarg_segment_size: 480
    .language:       OpenCL C
    .language_version:
      - 2
      - 0
    .max_flat_workgroup_size: 1024
    .name:           naive_conv_ab_packed_fwd_nhwc_float_double_float
    .private_segment_fixed_size: 0
    .sgpr_count:     62
    .sgpr_spill_count: 0
    .symbol:         naive_conv_ab_packed_fwd_nhwc_float_double_float.kd
    .uniform_work_group_size: 1
    .uses_dynamic_stack: false
    .vgpr_count:     26
    .vgpr_spill_count: 0
    .wavefront_size: 32
  - .args:
      - .actual_access:  read_only
        .address_space:  global
        .offset:         0
        .size:           8
        .value_kind:     global_buffer
      - .actual_access:  read_only
        .address_space:  global
        .offset:         8
        .size:           8
        .value_kind:     global_buffer
      - .offset:         16
        .size:           8
        .value_kind:     by_value
      - .offset:         24
        .size:           8
        .value_kind:     by_value
      - .address_space:  global
        .offset:         32
        .size:           8
        .value_kind:     global_buffer
      - .offset:         40
        .size:           40
        .value_kind:     by_value
      - .offset:         80
        .size:           40
        .value_kind:     by_value
      - .offset:         120
        .size:           40
        .value_kind:     by_value
      - .offset:         160
        .size:           4
        .value_kind:     by_value
      - .offset:         164
        .size:           4
        .value_kind:     by_value
      - .offset:         168
        .size:           4
        .value_kind:     by_value
      - .offset:         172
        .size:           4
        .value_kind:     by_value
      - .offset:         176
        .size:           4
        .value_kind:     by_value
      - .offset:         180
        .size:           4
        .value_kind:     by_value
      - .offset:         184
        .size:           4
        .value_kind:     by_value
      - .offset:         188
        .size:           4
        .value_kind:     by_value
      - .offset:         192
        .size:           4
        .value_kind:     by_value
      - .offset:         196
        .size:           4
        .value_kind:     by_value
      - .offset:         200
        .size:           4
        .value_kind:     by_value
      - .offset:         204
        .size:           4
        .value_kind:     by_value
      - .offset:         208
        .size:           4
        .value_kind:     by_value
      - .offset:         212
        .size:           4
        .value_kind:     by_value
      - .offset:         216
        .size:           4
        .value_kind:     by_value
      - .offset:         220
        .size:           4
        .value_kind:     by_value
      - .offset:         224
        .size:           4
        .value_kind:     hidden_block_count_x
      - .offset:         228
        .size:           4
        .value_kind:     hidden_block_count_y
      - .offset:         232
        .size:           4
        .value_kind:     hidden_block_count_z
      - .offset:         236
        .size:           2
        .value_kind:     hidden_group_size_x
      - .offset:         238
        .size:           2
        .value_kind:     hidden_group_size_y
      - .offset:         240
        .size:           2
        .value_kind:     hidden_group_size_z
      - .offset:         242
        .size:           2
        .value_kind:     hidden_remainder_x
      - .offset:         244
        .size:           2
        .value_kind:     hidden_remainder_y
      - .offset:         246
        .size:           2
        .value_kind:     hidden_remainder_z
      - .offset:         264
        .size:           8
        .value_kind:     hidden_global_offset_x
      - .offset:         272
        .size:           8
        .value_kind:     hidden_global_offset_y
      - .offset:         280
        .size:           8
        .value_kind:     hidden_global_offset_z
      - .offset:         288
        .size:           2
        .value_kind:     hidden_grid_dims
    .group_segment_fixed_size: 0
    .kernarg_segment_align: 8
    .kernarg_segment_size: 480
    .language:       OpenCL C
    .language_version:
      - 2
      - 0
    .max_flat_workgroup_size: 1024
    .name:           naive_conv_ab_nonpacked_fwd_nhwc_float_double_float
    .private_segment_fixed_size: 0
    .sgpr_count:     71
    .sgpr_spill_count: 0
    .symbol:         naive_conv_ab_nonpacked_fwd_nhwc_float_double_float.kd
    .uniform_work_group_size: 1
    .uses_dynamic_stack: false
    .vgpr_count:     28
    .vgpr_spill_count: 0
    .wavefront_size: 32
  - .args:
      - .actual_access:  read_only
        .address_space:  global
        .offset:         0
        .size:           8
        .value_kind:     global_buffer
      - .actual_access:  read_only
        .address_space:  global
        .offset:         8
        .size:           8
        .value_kind:     global_buffer
      - .offset:         16
        .size:           8
        .value_kind:     by_value
      - .offset:         24
        .size:           8
        .value_kind:     by_value
      - .address_space:  global
        .offset:         32
        .size:           8
        .value_kind:     global_buffer
      - .offset:         40
        .size:           40
        .value_kind:     by_value
      - .offset:         80
        .size:           40
        .value_kind:     by_value
      - .offset:         120
        .size:           40
        .value_kind:     by_value
      - .offset:         160
        .size:           4
        .value_kind:     by_value
      - .offset:         164
        .size:           4
        .value_kind:     by_value
      - .offset:         168
        .size:           4
        .value_kind:     by_value
      - .offset:         172
        .size:           4
        .value_kind:     by_value
      - .offset:         176
        .size:           4
        .value_kind:     by_value
      - .offset:         180
        .size:           4
        .value_kind:     by_value
      - .offset:         184
        .size:           4
        .value_kind:     by_value
      - .offset:         188
        .size:           4
        .value_kind:     by_value
      - .offset:         192
        .size:           4
        .value_kind:     by_value
      - .offset:         196
        .size:           4
        .value_kind:     by_value
      - .offset:         200
        .size:           4
        .value_kind:     by_value
      - .offset:         204
        .size:           4
        .value_kind:     by_value
      - .offset:         208
        .size:           4
        .value_kind:     by_value
      - .offset:         212
        .size:           4
        .value_kind:     by_value
      - .offset:         216
        .size:           4
        .value_kind:     by_value
      - .offset:         220
        .size:           4
        .value_kind:     by_value
      - .offset:         224
        .size:           4
        .value_kind:     hidden_block_count_x
      - .offset:         228
        .size:           4
        .value_kind:     hidden_block_count_y
      - .offset:         232
        .size:           4
        .value_kind:     hidden_block_count_z
      - .offset:         236
        .size:           2
        .value_kind:     hidden_group_size_x
      - .offset:         238
        .size:           2
        .value_kind:     hidden_group_size_y
      - .offset:         240
        .size:           2
        .value_kind:     hidden_group_size_z
      - .offset:         242
        .size:           2
        .value_kind:     hidden_remainder_x
      - .offset:         244
        .size:           2
        .value_kind:     hidden_remainder_y
      - .offset:         246
        .size:           2
        .value_kind:     hidden_remainder_z
      - .offset:         264
        .size:           8
        .value_kind:     hidden_global_offset_x
      - .offset:         272
        .size:           8
        .value_kind:     hidden_global_offset_y
      - .offset:         280
        .size:           8
        .value_kind:     hidden_global_offset_z
      - .offset:         288
        .size:           2
        .value_kind:     hidden_grid_dims
    .group_segment_fixed_size: 0
    .kernarg_segment_align: 8
    .kernarg_segment_size: 480
    .language:       OpenCL C
    .language_version:
      - 2
      - 0
    .max_flat_workgroup_size: 1024
    .name:           naive_conv_ab_packed_fwd_nhwc_half_double_half
    .private_segment_fixed_size: 0
    .sgpr_count:     62
    .sgpr_spill_count: 0
    .symbol:         naive_conv_ab_packed_fwd_nhwc_half_double_half.kd
    .uniform_work_group_size: 1
    .uses_dynamic_stack: false
    .vgpr_count:     26
    .vgpr_spill_count: 0
    .wavefront_size: 32
  - .args:
      - .actual_access:  read_only
        .address_space:  global
        .offset:         0
        .size:           8
        .value_kind:     global_buffer
      - .actual_access:  read_only
        .address_space:  global
        .offset:         8
        .size:           8
        .value_kind:     global_buffer
      - .offset:         16
        .size:           8
        .value_kind:     by_value
      - .offset:         24
        .size:           8
        .value_kind:     by_value
      - .address_space:  global
        .offset:         32
        .size:           8
        .value_kind:     global_buffer
      - .offset:         40
        .size:           40
        .value_kind:     by_value
      - .offset:         80
        .size:           40
        .value_kind:     by_value
      - .offset:         120
        .size:           40
        .value_kind:     by_value
      - .offset:         160
        .size:           4
        .value_kind:     by_value
      - .offset:         164
        .size:           4
        .value_kind:     by_value
      - .offset:         168
        .size:           4
        .value_kind:     by_value
      - .offset:         172
        .size:           4
        .value_kind:     by_value
      - .offset:         176
        .size:           4
        .value_kind:     by_value
      - .offset:         180
        .size:           4
        .value_kind:     by_value
      - .offset:         184
        .size:           4
        .value_kind:     by_value
      - .offset:         188
        .size:           4
        .value_kind:     by_value
      - .offset:         192
        .size:           4
        .value_kind:     by_value
      - .offset:         196
        .size:           4
        .value_kind:     by_value
      - .offset:         200
        .size:           4
        .value_kind:     by_value
      - .offset:         204
        .size:           4
        .value_kind:     by_value
      - .offset:         208
        .size:           4
        .value_kind:     by_value
      - .offset:         212
        .size:           4
        .value_kind:     by_value
      - .offset:         216
        .size:           4
        .value_kind:     by_value
      - .offset:         220
        .size:           4
        .value_kind:     by_value
      - .offset:         224
        .size:           4
        .value_kind:     hidden_block_count_x
      - .offset:         228
        .size:           4
        .value_kind:     hidden_block_count_y
      - .offset:         232
        .size:           4
        .value_kind:     hidden_block_count_z
      - .offset:         236
        .size:           2
        .value_kind:     hidden_group_size_x
      - .offset:         238
        .size:           2
        .value_kind:     hidden_group_size_y
      - .offset:         240
        .size:           2
        .value_kind:     hidden_group_size_z
      - .offset:         242
        .size:           2
        .value_kind:     hidden_remainder_x
      - .offset:         244
        .size:           2
        .value_kind:     hidden_remainder_y
      - .offset:         246
        .size:           2
        .value_kind:     hidden_remainder_z
      - .offset:         264
        .size:           8
        .value_kind:     hidden_global_offset_x
      - .offset:         272
        .size:           8
        .value_kind:     hidden_global_offset_y
      - .offset:         280
        .size:           8
        .value_kind:     hidden_global_offset_z
      - .offset:         288
        .size:           2
        .value_kind:     hidden_grid_dims
    .group_segment_fixed_size: 0
    .kernarg_segment_align: 8
    .kernarg_segment_size: 480
    .language:       OpenCL C
    .language_version:
      - 2
      - 0
    .max_flat_workgroup_size: 1024
    .name:           naive_conv_ab_nonpacked_fwd_nhwc_half_double_half
    .private_segment_fixed_size: 0
    .sgpr_count:     71
    .sgpr_spill_count: 0
    .symbol:         naive_conv_ab_nonpacked_fwd_nhwc_half_double_half.kd
    .uniform_work_group_size: 1
    .uses_dynamic_stack: false
    .vgpr_count:     28
    .vgpr_spill_count: 0
    .wavefront_size: 32
  - .args:
      - .actual_access:  read_only
        .address_space:  global
        .offset:         0
        .size:           8
        .value_kind:     global_buffer
      - .actual_access:  read_only
        .address_space:  global
        .offset:         8
        .size:           8
        .value_kind:     global_buffer
      - .offset:         16
        .size:           8
        .value_kind:     by_value
      - .offset:         24
        .size:           8
        .value_kind:     by_value
      - .address_space:  global
        .offset:         32
        .size:           8
        .value_kind:     global_buffer
      - .offset:         40
        .size:           40
        .value_kind:     by_value
      - .offset:         80
        .size:           40
        .value_kind:     by_value
      - .offset:         120
        .size:           40
        .value_kind:     by_value
      - .offset:         160
        .size:           4
        .value_kind:     by_value
      - .offset:         164
        .size:           4
        .value_kind:     by_value
      - .offset:         168
        .size:           4
        .value_kind:     by_value
      - .offset:         172
        .size:           4
        .value_kind:     by_value
      - .offset:         176
        .size:           4
        .value_kind:     by_value
      - .offset:         180
        .size:           4
        .value_kind:     by_value
      - .offset:         184
        .size:           4
        .value_kind:     by_value
      - .offset:         188
        .size:           4
        .value_kind:     by_value
      - .offset:         192
        .size:           4
        .value_kind:     by_value
      - .offset:         196
        .size:           4
        .value_kind:     by_value
      - .offset:         200
        .size:           4
        .value_kind:     by_value
      - .offset:         204
        .size:           4
        .value_kind:     by_value
      - .offset:         208
        .size:           4
        .value_kind:     by_value
      - .offset:         212
        .size:           4
        .value_kind:     by_value
      - .offset:         216
        .size:           4
        .value_kind:     by_value
      - .offset:         220
        .size:           4
        .value_kind:     by_value
      - .offset:         224
        .size:           4
        .value_kind:     hidden_block_count_x
      - .offset:         228
        .size:           4
        .value_kind:     hidden_block_count_y
      - .offset:         232
        .size:           4
        .value_kind:     hidden_block_count_z
      - .offset:         236
        .size:           2
        .value_kind:     hidden_group_size_x
      - .offset:         238
        .size:           2
        .value_kind:     hidden_group_size_y
      - .offset:         240
        .size:           2
        .value_kind:     hidden_group_size_z
      - .offset:         242
        .size:           2
        .value_kind:     hidden_remainder_x
      - .offset:         244
        .size:           2
        .value_kind:     hidden_remainder_y
      - .offset:         246
        .size:           2
        .value_kind:     hidden_remainder_z
      - .offset:         264
        .size:           8
        .value_kind:     hidden_global_offset_x
      - .offset:         272
        .size:           8
        .value_kind:     hidden_global_offset_y
      - .offset:         280
        .size:           8
        .value_kind:     hidden_global_offset_z
      - .offset:         288
        .size:           2
        .value_kind:     hidden_grid_dims
    .group_segment_fixed_size: 0
    .kernarg_segment_align: 8
    .kernarg_segment_size: 480
    .language:       OpenCL C
    .language_version:
      - 2
      - 0
    .max_flat_workgroup_size: 1024
    .name:           naive_conv_ab_packed_fwd_nhwc_ushort_double_ushort
    .private_segment_fixed_size: 0
    .sgpr_count:     62
    .sgpr_spill_count: 0
    .symbol:         naive_conv_ab_packed_fwd_nhwc_ushort_double_ushort.kd
    .uniform_work_group_size: 1
    .uses_dynamic_stack: false
    .vgpr_count:     26
    .vgpr_spill_count: 0
    .wavefront_size: 32
  - .args:
      - .actual_access:  read_only
        .address_space:  global
        .offset:         0
        .size:           8
        .value_kind:     global_buffer
      - .actual_access:  read_only
        .address_space:  global
        .offset:         8
        .size:           8
        .value_kind:     global_buffer
      - .offset:         16
        .size:           8
        .value_kind:     by_value
      - .offset:         24
        .size:           8
        .value_kind:     by_value
      - .address_space:  global
        .offset:         32
        .size:           8
        .value_kind:     global_buffer
      - .offset:         40
        .size:           40
        .value_kind:     by_value
      - .offset:         80
        .size:           40
        .value_kind:     by_value
      - .offset:         120
        .size:           40
        .value_kind:     by_value
      - .offset:         160
        .size:           4
        .value_kind:     by_value
      - .offset:         164
        .size:           4
        .value_kind:     by_value
      - .offset:         168
        .size:           4
        .value_kind:     by_value
      - .offset:         172
        .size:           4
        .value_kind:     by_value
      - .offset:         176
        .size:           4
        .value_kind:     by_value
      - .offset:         180
        .size:           4
        .value_kind:     by_value
      - .offset:         184
        .size:           4
        .value_kind:     by_value
      - .offset:         188
        .size:           4
        .value_kind:     by_value
      - .offset:         192
        .size:           4
        .value_kind:     by_value
      - .offset:         196
        .size:           4
        .value_kind:     by_value
      - .offset:         200
        .size:           4
        .value_kind:     by_value
      - .offset:         204
        .size:           4
        .value_kind:     by_value
      - .offset:         208
        .size:           4
        .value_kind:     by_value
      - .offset:         212
        .size:           4
        .value_kind:     by_value
      - .offset:         216
        .size:           4
        .value_kind:     by_value
      - .offset:         220
        .size:           4
        .value_kind:     by_value
      - .offset:         224
        .size:           4
        .value_kind:     hidden_block_count_x
      - .offset:         228
        .size:           4
        .value_kind:     hidden_block_count_y
      - .offset:         232
        .size:           4
        .value_kind:     hidden_block_count_z
      - .offset:         236
        .size:           2
        .value_kind:     hidden_group_size_x
      - .offset:         238
        .size:           2
        .value_kind:     hidden_group_size_y
      - .offset:         240
        .size:           2
        .value_kind:     hidden_group_size_z
      - .offset:         242
        .size:           2
        .value_kind:     hidden_remainder_x
      - .offset:         244
        .size:           2
        .value_kind:     hidden_remainder_y
      - .offset:         246
        .size:           2
        .value_kind:     hidden_remainder_z
      - .offset:         264
        .size:           8
        .value_kind:     hidden_global_offset_x
      - .offset:         272
        .size:           8
        .value_kind:     hidden_global_offset_y
      - .offset:         280
        .size:           8
        .value_kind:     hidden_global_offset_z
      - .offset:         288
        .size:           2
        .value_kind:     hidden_grid_dims
    .group_segment_fixed_size: 0
    .kernarg_segment_align: 8
    .kernarg_segment_size: 480
    .language:       OpenCL C
    .language_version:
      - 2
      - 0
    .max_flat_workgroup_size: 1024
    .name:           naive_conv_ab_nonpacked_fwd_nhwc_ushort_double_ushort
    .private_segment_fixed_size: 0
    .sgpr_count:     71
    .sgpr_spill_count: 0
    .symbol:         naive_conv_ab_nonpacked_fwd_nhwc_ushort_double_ushort.kd
    .uniform_work_group_size: 1
    .uses_dynamic_stack: false
    .vgpr_count:     28
    .vgpr_spill_count: 0
    .wavefront_size: 32
  - .args:
      - .actual_access:  read_only
        .address_space:  global
        .offset:         0
        .size:           8
        .value_kind:     global_buffer
      - .actual_access:  read_only
        .address_space:  global
        .offset:         8
        .size:           8
        .value_kind:     global_buffer
      - .offset:         16
        .size:           8
        .value_kind:     by_value
      - .offset:         24
        .size:           8
        .value_kind:     by_value
      - .address_space:  global
        .offset:         32
        .size:           8
        .value_kind:     global_buffer
      - .offset:         40
        .size:           40
        .value_kind:     by_value
      - .offset:         80
        .size:           40
        .value_kind:     by_value
      - .offset:         120
        .size:           40
        .value_kind:     by_value
      - .offset:         160
        .size:           4
        .value_kind:     by_value
      - .offset:         164
        .size:           4
        .value_kind:     by_value
      - .offset:         168
        .size:           4
        .value_kind:     by_value
      - .offset:         172
        .size:           4
        .value_kind:     by_value
      - .offset:         176
        .size:           4
        .value_kind:     by_value
      - .offset:         180
        .size:           4
        .value_kind:     by_value
      - .offset:         184
        .size:           4
        .value_kind:     by_value
      - .offset:         188
        .size:           4
        .value_kind:     by_value
      - .offset:         192
        .size:           4
        .value_kind:     by_value
      - .offset:         196
        .size:           4
        .value_kind:     by_value
      - .offset:         200
        .size:           4
        .value_kind:     by_value
      - .offset:         204
        .size:           4
        .value_kind:     by_value
      - .offset:         208
        .size:           4
        .value_kind:     by_value
      - .offset:         212
        .size:           4
        .value_kind:     by_value
      - .offset:         216
        .size:           4
        .value_kind:     by_value
      - .offset:         220
        .size:           4
        .value_kind:     by_value
      - .offset:         224
        .size:           4
        .value_kind:     hidden_block_count_x
      - .offset:         228
        .size:           4
        .value_kind:     hidden_block_count_y
      - .offset:         232
        .size:           4
        .value_kind:     hidden_block_count_z
      - .offset:         236
        .size:           2
        .value_kind:     hidden_group_size_x
      - .offset:         238
        .size:           2
        .value_kind:     hidden_group_size_y
      - .offset:         240
        .size:           2
        .value_kind:     hidden_group_size_z
      - .offset:         242
        .size:           2
        .value_kind:     hidden_remainder_x
      - .offset:         244
        .size:           2
        .value_kind:     hidden_remainder_y
      - .offset:         246
        .size:           2
        .value_kind:     hidden_remainder_z
      - .offset:         264
        .size:           8
        .value_kind:     hidden_global_offset_x
      - .offset:         272
        .size:           8
        .value_kind:     hidden_global_offset_y
      - .offset:         280
        .size:           8
        .value_kind:     hidden_global_offset_z
      - .offset:         288
        .size:           2
        .value_kind:     hidden_grid_dims
    .group_segment_fixed_size: 0
    .kernarg_segment_align: 8
    .kernarg_segment_size: 480
    .language:       OpenCL C
    .language_version:
      - 2
      - 0
    .max_flat_workgroup_size: 1024
    .name:           naive_conv_ab_packed_fwd_nhwc_int8_t_int32_t_int8_t
    .private_segment_fixed_size: 0
    .sgpr_count:     57
    .sgpr_spill_count: 0
    .symbol:         naive_conv_ab_packed_fwd_nhwc_int8_t_int32_t_int8_t.kd
    .uniform_work_group_size: 1
    .uses_dynamic_stack: false
    .vgpr_count:     24
    .vgpr_spill_count: 0
    .wavefront_size: 32
  - .args:
      - .actual_access:  read_only
        .address_space:  global
        .offset:         0
        .size:           8
        .value_kind:     global_buffer
      - .actual_access:  read_only
        .address_space:  global
        .offset:         8
        .size:           8
        .value_kind:     global_buffer
      - .offset:         16
        .size:           8
        .value_kind:     by_value
      - .offset:         24
        .size:           8
        .value_kind:     by_value
      - .address_space:  global
        .offset:         32
        .size:           8
        .value_kind:     global_buffer
      - .offset:         40
        .size:           40
        .value_kind:     by_value
      - .offset:         80
        .size:           40
        .value_kind:     by_value
      - .offset:         120
        .size:           40
        .value_kind:     by_value
      - .offset:         160
        .size:           4
        .value_kind:     by_value
      - .offset:         164
        .size:           4
        .value_kind:     by_value
      - .offset:         168
        .size:           4
        .value_kind:     by_value
      - .offset:         172
        .size:           4
        .value_kind:     by_value
      - .offset:         176
        .size:           4
        .value_kind:     by_value
      - .offset:         180
        .size:           4
        .value_kind:     by_value
      - .offset:         184
        .size:           4
        .value_kind:     by_value
      - .offset:         188
        .size:           4
        .value_kind:     by_value
      - .offset:         192
        .size:           4
        .value_kind:     by_value
      - .offset:         196
        .size:           4
        .value_kind:     by_value
      - .offset:         200
        .size:           4
        .value_kind:     by_value
      - .offset:         204
        .size:           4
        .value_kind:     by_value
      - .offset:         208
        .size:           4
        .value_kind:     by_value
      - .offset:         212
        .size:           4
        .value_kind:     by_value
      - .offset:         216
        .size:           4
        .value_kind:     by_value
      - .offset:         220
        .size:           4
        .value_kind:     by_value
      - .offset:         224
        .size:           4
        .value_kind:     hidden_block_count_x
      - .offset:         228
        .size:           4
        .value_kind:     hidden_block_count_y
      - .offset:         232
        .size:           4
        .value_kind:     hidden_block_count_z
      - .offset:         236
        .size:           2
        .value_kind:     hidden_group_size_x
      - .offset:         238
        .size:           2
        .value_kind:     hidden_group_size_y
      - .offset:         240
        .size:           2
        .value_kind:     hidden_group_size_z
      - .offset:         242
        .size:           2
        .value_kind:     hidden_remainder_x
      - .offset:         244
        .size:           2
        .value_kind:     hidden_remainder_y
      - .offset:         246
        .size:           2
        .value_kind:     hidden_remainder_z
      - .offset:         264
        .size:           8
        .value_kind:     hidden_global_offset_x
      - .offset:         272
        .size:           8
        .value_kind:     hidden_global_offset_y
      - .offset:         280
        .size:           8
        .value_kind:     hidden_global_offset_z
      - .offset:         288
        .size:           2
        .value_kind:     hidden_grid_dims
    .group_segment_fixed_size: 0
    .kernarg_segment_align: 8
    .kernarg_segment_size: 480
    .language:       OpenCL C
    .language_version:
      - 2
      - 0
    .max_flat_workgroup_size: 1024
    .name:           naive_conv_ab_nonpacked_fwd_nhwc_int8_t_int32_t_int8_t
    .private_segment_fixed_size: 0
    .sgpr_count:     72
    .sgpr_spill_count: 0
    .symbol:         naive_conv_ab_nonpacked_fwd_nhwc_int8_t_int32_t_int8_t.kd
    .uniform_work_group_size: 1
    .uses_dynamic_stack: false
    .vgpr_count:     26
    .vgpr_spill_count: 0
    .wavefront_size: 32
  - .args:
      - .actual_access:  read_only
        .address_space:  global
        .offset:         0
        .size:           8
        .value_kind:     global_buffer
      - .actual_access:  read_only
        .address_space:  global
        .offset:         8
        .size:           8
        .value_kind:     global_buffer
      - .offset:         16
        .size:           8
        .value_kind:     by_value
      - .offset:         24
        .size:           8
        .value_kind:     by_value
      - .address_space:  global
        .offset:         32
        .size:           8
        .value_kind:     global_buffer
      - .offset:         40
        .size:           40
        .value_kind:     by_value
      - .offset:         80
        .size:           40
        .value_kind:     by_value
      - .offset:         120
        .size:           40
        .value_kind:     by_value
      - .offset:         160
        .size:           4
        .value_kind:     by_value
      - .offset:         164
        .size:           4
        .value_kind:     by_value
      - .offset:         168
        .size:           4
        .value_kind:     by_value
      - .offset:         172
        .size:           4
        .value_kind:     by_value
      - .offset:         176
        .size:           4
        .value_kind:     by_value
      - .offset:         180
        .size:           4
        .value_kind:     by_value
      - .offset:         184
        .size:           4
        .value_kind:     by_value
      - .offset:         188
        .size:           4
        .value_kind:     by_value
      - .offset:         192
        .size:           4
        .value_kind:     by_value
      - .offset:         196
        .size:           4
        .value_kind:     by_value
      - .offset:         200
        .size:           4
        .value_kind:     by_value
      - .offset:         204
        .size:           4
        .value_kind:     by_value
      - .offset:         208
        .size:           4
        .value_kind:     by_value
      - .offset:         212
        .size:           4
        .value_kind:     by_value
      - .offset:         216
        .size:           4
        .value_kind:     by_value
      - .offset:         220
        .size:           4
        .value_kind:     by_value
      - .offset:         224
        .size:           4
        .value_kind:     hidden_block_count_x
      - .offset:         228
        .size:           4
        .value_kind:     hidden_block_count_y
      - .offset:         232
        .size:           4
        .value_kind:     hidden_block_count_z
      - .offset:         236
        .size:           2
        .value_kind:     hidden_group_size_x
      - .offset:         238
        .size:           2
        .value_kind:     hidden_group_size_y
      - .offset:         240
        .size:           2
        .value_kind:     hidden_group_size_z
      - .offset:         242
        .size:           2
        .value_kind:     hidden_remainder_x
      - .offset:         244
        .size:           2
        .value_kind:     hidden_remainder_y
      - .offset:         246
        .size:           2
        .value_kind:     hidden_remainder_z
      - .offset:         264
        .size:           8
        .value_kind:     hidden_global_offset_x
      - .offset:         272
        .size:           8
        .value_kind:     hidden_global_offset_y
      - .offset:         280
        .size:           8
        .value_kind:     hidden_global_offset_z
      - .offset:         288
        .size:           2
        .value_kind:     hidden_grid_dims
    .group_segment_fixed_size: 0
    .kernarg_segment_align: 8
    .kernarg_segment_size: 480
    .language:       OpenCL C
    .language_version:
      - 2
      - 0
    .max_flat_workgroup_size: 1024
    .name:           naive_conv_ab_packed_fwd_nhwc_int8_t_int32_t_int32_t
    .private_segment_fixed_size: 0
    .sgpr_count:     57
    .sgpr_spill_count: 0
    .symbol:         naive_conv_ab_packed_fwd_nhwc_int8_t_int32_t_int32_t.kd
    .uniform_work_group_size: 1
    .uses_dynamic_stack: false
    .vgpr_count:     24
    .vgpr_spill_count: 0
    .wavefront_size: 32
  - .args:
      - .actual_access:  read_only
        .address_space:  global
        .offset:         0
        .size:           8
        .value_kind:     global_buffer
      - .actual_access:  read_only
        .address_space:  global
        .offset:         8
        .size:           8
        .value_kind:     global_buffer
      - .offset:         16
        .size:           8
        .value_kind:     by_value
      - .offset:         24
        .size:           8
        .value_kind:     by_value
      - .address_space:  global
        .offset:         32
        .size:           8
        .value_kind:     global_buffer
      - .offset:         40
        .size:           40
        .value_kind:     by_value
      - .offset:         80
        .size:           40
        .value_kind:     by_value
      - .offset:         120
        .size:           40
        .value_kind:     by_value
      - .offset:         160
        .size:           4
        .value_kind:     by_value
      - .offset:         164
        .size:           4
        .value_kind:     by_value
      - .offset:         168
        .size:           4
        .value_kind:     by_value
      - .offset:         172
        .size:           4
        .value_kind:     by_value
      - .offset:         176
        .size:           4
        .value_kind:     by_value
      - .offset:         180
        .size:           4
        .value_kind:     by_value
      - .offset:         184
        .size:           4
        .value_kind:     by_value
      - .offset:         188
        .size:           4
        .value_kind:     by_value
      - .offset:         192
        .size:           4
        .value_kind:     by_value
      - .offset:         196
        .size:           4
        .value_kind:     by_value
      - .offset:         200
        .size:           4
        .value_kind:     by_value
      - .offset:         204
        .size:           4
        .value_kind:     by_value
      - .offset:         208
        .size:           4
        .value_kind:     by_value
      - .offset:         212
        .size:           4
        .value_kind:     by_value
      - .offset:         216
        .size:           4
        .value_kind:     by_value
      - .offset:         220
        .size:           4
        .value_kind:     by_value
      - .offset:         224
        .size:           4
        .value_kind:     hidden_block_count_x
      - .offset:         228
        .size:           4
        .value_kind:     hidden_block_count_y
      - .offset:         232
        .size:           4
        .value_kind:     hidden_block_count_z
      - .offset:         236
        .size:           2
        .value_kind:     hidden_group_size_x
      - .offset:         238
        .size:           2
        .value_kind:     hidden_group_size_y
      - .offset:         240
        .size:           2
        .value_kind:     hidden_group_size_z
      - .offset:         242
        .size:           2
        .value_kind:     hidden_remainder_x
      - .offset:         244
        .size:           2
        .value_kind:     hidden_remainder_y
      - .offset:         246
        .size:           2
        .value_kind:     hidden_remainder_z
      - .offset:         264
        .size:           8
        .value_kind:     hidden_global_offset_x
      - .offset:         272
        .size:           8
        .value_kind:     hidden_global_offset_y
      - .offset:         280
        .size:           8
        .value_kind:     hidden_global_offset_z
      - .offset:         288
        .size:           2
        .value_kind:     hidden_grid_dims
    .group_segment_fixed_size: 0
    .kernarg_segment_align: 8
    .kernarg_segment_size: 480
    .language:       OpenCL C
    .language_version:
      - 2
      - 0
    .max_flat_workgroup_size: 1024
    .name:           naive_conv_ab_nonpacked_fwd_nhwc_int8_t_int32_t_int32_t
    .private_segment_fixed_size: 0
    .sgpr_count:     67
    .sgpr_spill_count: 0
    .symbol:         naive_conv_ab_nonpacked_fwd_nhwc_int8_t_int32_t_int32_t.kd
    .uniform_work_group_size: 1
    .uses_dynamic_stack: false
    .vgpr_count:     26
    .vgpr_spill_count: 0
    .wavefront_size: 32
  - .args:
      - .actual_access:  read_only
        .address_space:  global
        .offset:         0
        .size:           8
        .value_kind:     global_buffer
      - .actual_access:  read_only
        .address_space:  global
        .offset:         8
        .size:           8
        .value_kind:     global_buffer
      - .offset:         16
        .size:           8
        .value_kind:     by_value
      - .offset:         24
        .size:           8
        .value_kind:     by_value
      - .address_space:  global
        .offset:         32
        .size:           8
        .value_kind:     global_buffer
      - .offset:         40
        .size:           40
        .value_kind:     by_value
      - .offset:         80
        .size:           40
        .value_kind:     by_value
      - .offset:         120
        .size:           40
        .value_kind:     by_value
      - .offset:         160
        .size:           4
        .value_kind:     by_value
      - .offset:         164
        .size:           4
        .value_kind:     by_value
      - .offset:         168
        .size:           4
        .value_kind:     by_value
      - .offset:         172
        .size:           4
        .value_kind:     by_value
      - .offset:         176
        .size:           4
        .value_kind:     by_value
      - .offset:         180
        .size:           4
        .value_kind:     by_value
      - .offset:         184
        .size:           4
        .value_kind:     by_value
      - .offset:         188
        .size:           4
        .value_kind:     by_value
      - .offset:         192
        .size:           4
        .value_kind:     by_value
      - .offset:         196
        .size:           4
        .value_kind:     by_value
      - .offset:         200
        .size:           4
        .value_kind:     by_value
      - .offset:         204
        .size:           4
        .value_kind:     by_value
      - .offset:         208
        .size:           4
        .value_kind:     by_value
      - .offset:         212
        .size:           4
        .value_kind:     by_value
      - .offset:         216
        .size:           4
        .value_kind:     by_value
      - .offset:         220
        .size:           4
        .value_kind:     by_value
      - .offset:         224
        .size:           4
        .value_kind:     hidden_block_count_x
      - .offset:         228
        .size:           4
        .value_kind:     hidden_block_count_y
      - .offset:         232
        .size:           4
        .value_kind:     hidden_block_count_z
      - .offset:         236
        .size:           2
        .value_kind:     hidden_group_size_x
      - .offset:         238
        .size:           2
        .value_kind:     hidden_group_size_y
      - .offset:         240
        .size:           2
        .value_kind:     hidden_group_size_z
      - .offset:         242
        .size:           2
        .value_kind:     hidden_remainder_x
      - .offset:         244
        .size:           2
        .value_kind:     hidden_remainder_y
      - .offset:         246
        .size:           2
        .value_kind:     hidden_remainder_z
      - .offset:         264
        .size:           8
        .value_kind:     hidden_global_offset_x
      - .offset:         272
        .size:           8
        .value_kind:     hidden_global_offset_y
      - .offset:         280
        .size:           8
        .value_kind:     hidden_global_offset_z
      - .offset:         288
        .size:           2
        .value_kind:     hidden_grid_dims
    .group_segment_fixed_size: 0
    .kernarg_segment_align: 8
    .kernarg_segment_size: 480
    .language:       OpenCL C
    .language_version:
      - 2
      - 0
    .max_flat_workgroup_size: 1024
    .name:           naive_conv_ab_packed_fwd_nhwc_int8_t_int32_t_float
    .private_segment_fixed_size: 0
    .sgpr_count:     57
    .sgpr_spill_count: 0
    .symbol:         naive_conv_ab_packed_fwd_nhwc_int8_t_int32_t_float.kd
    .uniform_work_group_size: 1
    .uses_dynamic_stack: false
    .vgpr_count:     24
    .vgpr_spill_count: 0
    .wavefront_size: 32
  - .args:
      - .actual_access:  read_only
        .address_space:  global
        .offset:         0
        .size:           8
        .value_kind:     global_buffer
      - .actual_access:  read_only
        .address_space:  global
        .offset:         8
        .size:           8
        .value_kind:     global_buffer
      - .offset:         16
        .size:           8
        .value_kind:     by_value
      - .offset:         24
        .size:           8
        .value_kind:     by_value
      - .address_space:  global
        .offset:         32
        .size:           8
        .value_kind:     global_buffer
      - .offset:         40
        .size:           40
        .value_kind:     by_value
      - .offset:         80
        .size:           40
        .value_kind:     by_value
      - .offset:         120
        .size:           40
        .value_kind:     by_value
      - .offset:         160
        .size:           4
        .value_kind:     by_value
      - .offset:         164
        .size:           4
        .value_kind:     by_value
      - .offset:         168
        .size:           4
        .value_kind:     by_value
      - .offset:         172
        .size:           4
        .value_kind:     by_value
      - .offset:         176
        .size:           4
        .value_kind:     by_value
      - .offset:         180
        .size:           4
        .value_kind:     by_value
      - .offset:         184
        .size:           4
        .value_kind:     by_value
      - .offset:         188
        .size:           4
        .value_kind:     by_value
      - .offset:         192
        .size:           4
        .value_kind:     by_value
      - .offset:         196
        .size:           4
        .value_kind:     by_value
      - .offset:         200
        .size:           4
        .value_kind:     by_value
      - .offset:         204
        .size:           4
        .value_kind:     by_value
      - .offset:         208
        .size:           4
        .value_kind:     by_value
      - .offset:         212
        .size:           4
        .value_kind:     by_value
      - .offset:         216
        .size:           4
        .value_kind:     by_value
      - .offset:         220
        .size:           4
        .value_kind:     by_value
      - .offset:         224
        .size:           4
        .value_kind:     hidden_block_count_x
      - .offset:         228
        .size:           4
        .value_kind:     hidden_block_count_y
      - .offset:         232
        .size:           4
        .value_kind:     hidden_block_count_z
      - .offset:         236
        .size:           2
        .value_kind:     hidden_group_size_x
      - .offset:         238
        .size:           2
        .value_kind:     hidden_group_size_y
      - .offset:         240
        .size:           2
        .value_kind:     hidden_group_size_z
      - .offset:         242
        .size:           2
        .value_kind:     hidden_remainder_x
      - .offset:         244
        .size:           2
        .value_kind:     hidden_remainder_y
      - .offset:         246
        .size:           2
        .value_kind:     hidden_remainder_z
      - .offset:         264
        .size:           8
        .value_kind:     hidden_global_offset_x
      - .offset:         272
        .size:           8
        .value_kind:     hidden_global_offset_y
      - .offset:         280
        .size:           8
        .value_kind:     hidden_global_offset_z
      - .offset:         288
        .size:           2
        .value_kind:     hidden_grid_dims
    .group_segment_fixed_size: 0
    .kernarg_segment_align: 8
    .kernarg_segment_size: 480
    .language:       OpenCL C
    .language_version:
      - 2
      - 0
    .max_flat_workgroup_size: 1024
    .name:           naive_conv_ab_nonpacked_fwd_nhwc_int8_t_int32_t_float
    .private_segment_fixed_size: 0
    .sgpr_count:     67
    .sgpr_spill_count: 0
    .symbol:         naive_conv_ab_nonpacked_fwd_nhwc_int8_t_int32_t_float.kd
    .uniform_work_group_size: 1
    .uses_dynamic_stack: false
    .vgpr_count:     26
    .vgpr_spill_count: 0
    .wavefront_size: 32
  - .args:
      - .address_space:  global
        .offset:         0
        .size:           8
        .value_kind:     global_buffer
      - .actual_access:  read_only
        .address_space:  global
        .offset:         8
        .size:           8
        .value_kind:     global_buffer
      - .offset:         16
        .size:           8
        .value_kind:     by_value
      - .offset:         24
        .size:           8
        .value_kind:     by_value
      - .actual_access:  read_only
        .address_space:  global
        .offset:         32
        .size:           8
        .value_kind:     global_buffer
      - .offset:         40
        .size:           40
        .value_kind:     by_value
      - .offset:         80
        .size:           40
        .value_kind:     by_value
      - .offset:         120
        .size:           40
        .value_kind:     by_value
      - .offset:         160
        .size:           4
        .value_kind:     by_value
      - .offset:         164
        .size:           4
        .value_kind:     by_value
      - .offset:         168
        .size:           4
        .value_kind:     by_value
      - .offset:         172
        .size:           4
        .value_kind:     by_value
      - .offset:         176
        .size:           4
        .value_kind:     by_value
      - .offset:         180
        .size:           4
        .value_kind:     by_value
      - .offset:         184
        .size:           4
        .value_kind:     by_value
      - .offset:         188
        .size:           4
        .value_kind:     by_value
      - .offset:         192
        .size:           4
        .value_kind:     by_value
      - .offset:         196
        .size:           4
        .value_kind:     by_value
      - .offset:         200
        .size:           4
        .value_kind:     by_value
      - .offset:         204
        .size:           4
        .value_kind:     by_value
      - .offset:         208
        .size:           4
        .value_kind:     by_value
      - .offset:         212
        .size:           4
        .value_kind:     by_value
      - .offset:         216
        .size:           4
        .value_kind:     by_value
      - .offset:         220
        .size:           4
        .value_kind:     by_value
      - .offset:         224
        .size:           4
        .value_kind:     hidden_block_count_x
      - .offset:         228
        .size:           4
        .value_kind:     hidden_block_count_y
      - .offset:         232
        .size:           4
        .value_kind:     hidden_block_count_z
      - .offset:         236
        .size:           2
        .value_kind:     hidden_group_size_x
      - .offset:         238
        .size:           2
        .value_kind:     hidden_group_size_y
      - .offset:         240
        .size:           2
        .value_kind:     hidden_group_size_z
      - .offset:         242
        .size:           2
        .value_kind:     hidden_remainder_x
      - .offset:         244
        .size:           2
        .value_kind:     hidden_remainder_y
      - .offset:         246
        .size:           2
        .value_kind:     hidden_remainder_z
      - .offset:         264
        .size:           8
        .value_kind:     hidden_global_offset_x
      - .offset:         272
        .size:           8
        .value_kind:     hidden_global_offset_y
      - .offset:         280
        .size:           8
        .value_kind:     hidden_global_offset_z
      - .offset:         288
        .size:           2
        .value_kind:     hidden_grid_dims
    .group_segment_fixed_size: 0
    .kernarg_segment_align: 8
    .kernarg_segment_size: 480
    .language:       OpenCL C
    .language_version:
      - 2
      - 0
    .max_flat_workgroup_size: 1024
    .name:           naive_conv_ab_packed_bwd_nchw_float_double_float
    .private_segment_fixed_size: 0
    .sgpr_count:     62
    .sgpr_spill_count: 0
    .symbol:         naive_conv_ab_packed_bwd_nchw_float_double_float.kd
    .uniform_work_group_size: 1
    .uses_dynamic_stack: false
    .vgpr_count:     18
    .vgpr_spill_count: 0
    .wavefront_size: 32
  - .args:
      - .address_space:  global
        .offset:         0
        .size:           8
        .value_kind:     global_buffer
      - .actual_access:  read_only
        .address_space:  global
        .offset:         8
        .size:           8
        .value_kind:     global_buffer
      - .offset:         16
        .size:           8
        .value_kind:     by_value
      - .offset:         24
        .size:           8
        .value_kind:     by_value
      - .actual_access:  read_only
        .address_space:  global
        .offset:         32
        .size:           8
        .value_kind:     global_buffer
      - .offset:         40
        .size:           40
        .value_kind:     by_value
      - .offset:         80
        .size:           40
        .value_kind:     by_value
      - .offset:         120
        .size:           40
        .value_kind:     by_value
      - .offset:         160
        .size:           4
        .value_kind:     by_value
      - .offset:         164
        .size:           4
        .value_kind:     by_value
      - .offset:         168
        .size:           4
        .value_kind:     by_value
      - .offset:         172
        .size:           4
        .value_kind:     by_value
      - .offset:         176
        .size:           4
        .value_kind:     by_value
      - .offset:         180
        .size:           4
        .value_kind:     by_value
      - .offset:         184
        .size:           4
        .value_kind:     by_value
      - .offset:         188
        .size:           4
        .value_kind:     by_value
      - .offset:         192
        .size:           4
        .value_kind:     by_value
      - .offset:         196
        .size:           4
        .value_kind:     by_value
      - .offset:         200
        .size:           4
        .value_kind:     by_value
      - .offset:         204
        .size:           4
        .value_kind:     by_value
      - .offset:         208
        .size:           4
        .value_kind:     by_value
      - .offset:         212
        .size:           4
        .value_kind:     by_value
      - .offset:         216
        .size:           4
        .value_kind:     by_value
      - .offset:         220
        .size:           4
        .value_kind:     by_value
      - .offset:         224
        .size:           4
        .value_kind:     hidden_block_count_x
      - .offset:         228
        .size:           4
        .value_kind:     hidden_block_count_y
      - .offset:         232
        .size:           4
        .value_kind:     hidden_block_count_z
      - .offset:         236
        .size:           2
        .value_kind:     hidden_group_size_x
      - .offset:         238
        .size:           2
        .value_kind:     hidden_group_size_y
      - .offset:         240
        .size:           2
        .value_kind:     hidden_group_size_z
      - .offset:         242
        .size:           2
        .value_kind:     hidden_remainder_x
      - .offset:         244
        .size:           2
        .value_kind:     hidden_remainder_y
      - .offset:         246
        .size:           2
        .value_kind:     hidden_remainder_z
      - .offset:         264
        .size:           8
        .value_kind:     hidden_global_offset_x
      - .offset:         272
        .size:           8
        .value_kind:     hidden_global_offset_y
      - .offset:         280
        .size:           8
        .value_kind:     hidden_global_offset_z
      - .offset:         288
        .size:           2
        .value_kind:     hidden_grid_dims
    .group_segment_fixed_size: 0
    .kernarg_segment_align: 8
    .kernarg_segment_size: 480
    .language:       OpenCL C
    .language_version:
      - 2
      - 0
    .max_flat_workgroup_size: 1024
    .name:           naive_conv_ab_nonpacked_bwd_nchw_float_double_float
    .private_segment_fixed_size: 0
    .sgpr_count:     72
    .sgpr_spill_count: 0
    .symbol:         naive_conv_ab_nonpacked_bwd_nchw_float_double_float.kd
    .uniform_work_group_size: 1
    .uses_dynamic_stack: false
    .vgpr_count:     18
    .vgpr_spill_count: 0
    .wavefront_size: 32
  - .args:
      - .address_space:  global
        .offset:         0
        .size:           8
        .value_kind:     global_buffer
      - .actual_access:  read_only
        .address_space:  global
        .offset:         8
        .size:           8
        .value_kind:     global_buffer
      - .offset:         16
        .size:           8
        .value_kind:     by_value
      - .offset:         24
        .size:           8
        .value_kind:     by_value
      - .actual_access:  read_only
        .address_space:  global
        .offset:         32
        .size:           8
        .value_kind:     global_buffer
      - .offset:         40
        .size:           40
        .value_kind:     by_value
      - .offset:         80
        .size:           40
        .value_kind:     by_value
      - .offset:         120
        .size:           40
        .value_kind:     by_value
      - .offset:         160
        .size:           4
        .value_kind:     by_value
      - .offset:         164
        .size:           4
        .value_kind:     by_value
      - .offset:         168
        .size:           4
        .value_kind:     by_value
      - .offset:         172
        .size:           4
        .value_kind:     by_value
      - .offset:         176
        .size:           4
        .value_kind:     by_value
      - .offset:         180
        .size:           4
        .value_kind:     by_value
      - .offset:         184
        .size:           4
        .value_kind:     by_value
      - .offset:         188
        .size:           4
        .value_kind:     by_value
      - .offset:         192
        .size:           4
        .value_kind:     by_value
      - .offset:         196
        .size:           4
        .value_kind:     by_value
      - .offset:         200
        .size:           4
        .value_kind:     by_value
      - .offset:         204
        .size:           4
        .value_kind:     by_value
      - .offset:         208
        .size:           4
        .value_kind:     by_value
      - .offset:         212
        .size:           4
        .value_kind:     by_value
      - .offset:         216
        .size:           4
        .value_kind:     by_value
      - .offset:         220
        .size:           4
        .value_kind:     by_value
      - .offset:         224
        .size:           4
        .value_kind:     hidden_block_count_x
      - .offset:         228
        .size:           4
        .value_kind:     hidden_block_count_y
      - .offset:         232
        .size:           4
        .value_kind:     hidden_block_count_z
      - .offset:         236
        .size:           2
        .value_kind:     hidden_group_size_x
      - .offset:         238
        .size:           2
        .value_kind:     hidden_group_size_y
      - .offset:         240
        .size:           2
        .value_kind:     hidden_group_size_z
      - .offset:         242
        .size:           2
        .value_kind:     hidden_remainder_x
      - .offset:         244
        .size:           2
        .value_kind:     hidden_remainder_y
      - .offset:         246
        .size:           2
        .value_kind:     hidden_remainder_z
      - .offset:         264
        .size:           8
        .value_kind:     hidden_global_offset_x
      - .offset:         272
        .size:           8
        .value_kind:     hidden_global_offset_y
      - .offset:         280
        .size:           8
        .value_kind:     hidden_global_offset_z
      - .offset:         288
        .size:           2
        .value_kind:     hidden_grid_dims
    .group_segment_fixed_size: 0
    .kernarg_segment_align: 8
    .kernarg_segment_size: 480
    .language:       OpenCL C
    .language_version:
      - 2
      - 0
    .max_flat_workgroup_size: 1024
    .name:           naive_conv_ab_packed_bwd_nchw_half_double_half
    .private_segment_fixed_size: 0
    .sgpr_count:     62
    .sgpr_spill_count: 0
    .symbol:         naive_conv_ab_packed_bwd_nchw_half_double_half.kd
    .uniform_work_group_size: 1
    .uses_dynamic_stack: false
    .vgpr_count:     19
    .vgpr_spill_count: 0
    .wavefront_size: 32
  - .args:
      - .address_space:  global
        .offset:         0
        .size:           8
        .value_kind:     global_buffer
      - .actual_access:  read_only
        .address_space:  global
        .offset:         8
        .size:           8
        .value_kind:     global_buffer
      - .offset:         16
        .size:           8
        .value_kind:     by_value
      - .offset:         24
        .size:           8
        .value_kind:     by_value
      - .actual_access:  read_only
        .address_space:  global
        .offset:         32
        .size:           8
        .value_kind:     global_buffer
      - .offset:         40
        .size:           40
        .value_kind:     by_value
      - .offset:         80
        .size:           40
        .value_kind:     by_value
      - .offset:         120
        .size:           40
        .value_kind:     by_value
      - .offset:         160
        .size:           4
        .value_kind:     by_value
      - .offset:         164
        .size:           4
        .value_kind:     by_value
      - .offset:         168
        .size:           4
        .value_kind:     by_value
      - .offset:         172
        .size:           4
        .value_kind:     by_value
      - .offset:         176
        .size:           4
        .value_kind:     by_value
      - .offset:         180
        .size:           4
        .value_kind:     by_value
      - .offset:         184
        .size:           4
        .value_kind:     by_value
      - .offset:         188
        .size:           4
        .value_kind:     by_value
      - .offset:         192
        .size:           4
        .value_kind:     by_value
      - .offset:         196
        .size:           4
        .value_kind:     by_value
      - .offset:         200
        .size:           4
        .value_kind:     by_value
      - .offset:         204
        .size:           4
        .value_kind:     by_value
      - .offset:         208
        .size:           4
        .value_kind:     by_value
      - .offset:         212
        .size:           4
        .value_kind:     by_value
      - .offset:         216
        .size:           4
        .value_kind:     by_value
      - .offset:         220
        .size:           4
        .value_kind:     by_value
      - .offset:         224
        .size:           4
        .value_kind:     hidden_block_count_x
      - .offset:         228
        .size:           4
        .value_kind:     hidden_block_count_y
      - .offset:         232
        .size:           4
        .value_kind:     hidden_block_count_z
      - .offset:         236
        .size:           2
        .value_kind:     hidden_group_size_x
      - .offset:         238
        .size:           2
        .value_kind:     hidden_group_size_y
      - .offset:         240
        .size:           2
        .value_kind:     hidden_group_size_z
      - .offset:         242
        .size:           2
        .value_kind:     hidden_remainder_x
      - .offset:         244
        .size:           2
        .value_kind:     hidden_remainder_y
      - .offset:         246
        .size:           2
        .value_kind:     hidden_remainder_z
      - .offset:         264
        .size:           8
        .value_kind:     hidden_global_offset_x
      - .offset:         272
        .size:           8
        .value_kind:     hidden_global_offset_y
      - .offset:         280
        .size:           8
        .value_kind:     hidden_global_offset_z
      - .offset:         288
        .size:           2
        .value_kind:     hidden_grid_dims
    .group_segment_fixed_size: 0
    .kernarg_segment_align: 8
    .kernarg_segment_size: 480
    .language:       OpenCL C
    .language_version:
      - 2
      - 0
    .max_flat_workgroup_size: 1024
    .name:           naive_conv_ab_nonpacked_bwd_nchw_half_double_half
    .private_segment_fixed_size: 0
    .sgpr_count:     72
    .sgpr_spill_count: 0
    .symbol:         naive_conv_ab_nonpacked_bwd_nchw_half_double_half.kd
    .uniform_work_group_size: 1
    .uses_dynamic_stack: false
    .vgpr_count:     19
    .vgpr_spill_count: 0
    .wavefront_size: 32
  - .args:
      - .address_space:  global
        .offset:         0
        .size:           8
        .value_kind:     global_buffer
      - .actual_access:  read_only
        .address_space:  global
        .offset:         8
        .size:           8
        .value_kind:     global_buffer
      - .offset:         16
        .size:           8
        .value_kind:     by_value
      - .offset:         24
        .size:           8
        .value_kind:     by_value
      - .actual_access:  read_only
        .address_space:  global
        .offset:         32
        .size:           8
        .value_kind:     global_buffer
      - .offset:         40
        .size:           40
        .value_kind:     by_value
      - .offset:         80
        .size:           40
        .value_kind:     by_value
      - .offset:         120
        .size:           40
        .value_kind:     by_value
      - .offset:         160
        .size:           4
        .value_kind:     by_value
      - .offset:         164
        .size:           4
        .value_kind:     by_value
      - .offset:         168
        .size:           4
        .value_kind:     by_value
      - .offset:         172
        .size:           4
        .value_kind:     by_value
      - .offset:         176
        .size:           4
        .value_kind:     by_value
      - .offset:         180
        .size:           4
        .value_kind:     by_value
      - .offset:         184
        .size:           4
        .value_kind:     by_value
      - .offset:         188
        .size:           4
        .value_kind:     by_value
      - .offset:         192
        .size:           4
        .value_kind:     by_value
      - .offset:         196
        .size:           4
        .value_kind:     by_value
      - .offset:         200
        .size:           4
        .value_kind:     by_value
      - .offset:         204
        .size:           4
        .value_kind:     by_value
      - .offset:         208
        .size:           4
        .value_kind:     by_value
      - .offset:         212
        .size:           4
        .value_kind:     by_value
      - .offset:         216
        .size:           4
        .value_kind:     by_value
      - .offset:         220
        .size:           4
        .value_kind:     by_value
      - .offset:         224
        .size:           4
        .value_kind:     hidden_block_count_x
      - .offset:         228
        .size:           4
        .value_kind:     hidden_block_count_y
      - .offset:         232
        .size:           4
        .value_kind:     hidden_block_count_z
      - .offset:         236
        .size:           2
        .value_kind:     hidden_group_size_x
      - .offset:         238
        .size:           2
        .value_kind:     hidden_group_size_y
      - .offset:         240
        .size:           2
        .value_kind:     hidden_group_size_z
      - .offset:         242
        .size:           2
        .value_kind:     hidden_remainder_x
      - .offset:         244
        .size:           2
        .value_kind:     hidden_remainder_y
      - .offset:         246
        .size:           2
        .value_kind:     hidden_remainder_z
      - .offset:         264
        .size:           8
        .value_kind:     hidden_global_offset_x
      - .offset:         272
        .size:           8
        .value_kind:     hidden_global_offset_y
      - .offset:         280
        .size:           8
        .value_kind:     hidden_global_offset_z
      - .offset:         288
        .size:           2
        .value_kind:     hidden_grid_dims
    .group_segment_fixed_size: 0
    .kernarg_segment_align: 8
    .kernarg_segment_size: 480
    .language:       OpenCL C
    .language_version:
      - 2
      - 0
    .max_flat_workgroup_size: 1024
    .name:           naive_conv_ab_packed_bwd_nchw_ushort_double_ushort
    .private_segment_fixed_size: 0
    .sgpr_count:     62
    .sgpr_spill_count: 0
    .symbol:         naive_conv_ab_packed_bwd_nchw_ushort_double_ushort.kd
    .uniform_work_group_size: 1
    .uses_dynamic_stack: false
    .vgpr_count:     18
    .vgpr_spill_count: 0
    .wavefront_size: 32
  - .args:
      - .address_space:  global
        .offset:         0
        .size:           8
        .value_kind:     global_buffer
      - .actual_access:  read_only
        .address_space:  global
        .offset:         8
        .size:           8
        .value_kind:     global_buffer
      - .offset:         16
        .size:           8
        .value_kind:     by_value
      - .offset:         24
        .size:           8
        .value_kind:     by_value
      - .actual_access:  read_only
        .address_space:  global
        .offset:         32
        .size:           8
        .value_kind:     global_buffer
      - .offset:         40
        .size:           40
        .value_kind:     by_value
      - .offset:         80
        .size:           40
        .value_kind:     by_value
      - .offset:         120
        .size:           40
        .value_kind:     by_value
      - .offset:         160
        .size:           4
        .value_kind:     by_value
      - .offset:         164
        .size:           4
        .value_kind:     by_value
      - .offset:         168
        .size:           4
        .value_kind:     by_value
      - .offset:         172
        .size:           4
        .value_kind:     by_value
      - .offset:         176
        .size:           4
        .value_kind:     by_value
      - .offset:         180
        .size:           4
        .value_kind:     by_value
      - .offset:         184
        .size:           4
        .value_kind:     by_value
      - .offset:         188
        .size:           4
        .value_kind:     by_value
      - .offset:         192
        .size:           4
        .value_kind:     by_value
      - .offset:         196
        .size:           4
        .value_kind:     by_value
      - .offset:         200
        .size:           4
        .value_kind:     by_value
      - .offset:         204
        .size:           4
        .value_kind:     by_value
      - .offset:         208
        .size:           4
        .value_kind:     by_value
      - .offset:         212
        .size:           4
        .value_kind:     by_value
      - .offset:         216
        .size:           4
        .value_kind:     by_value
      - .offset:         220
        .size:           4
        .value_kind:     by_value
      - .offset:         224
        .size:           4
        .value_kind:     hidden_block_count_x
      - .offset:         228
        .size:           4
        .value_kind:     hidden_block_count_y
      - .offset:         232
        .size:           4
        .value_kind:     hidden_block_count_z
      - .offset:         236
        .size:           2
        .value_kind:     hidden_group_size_x
      - .offset:         238
        .size:           2
        .value_kind:     hidden_group_size_y
      - .offset:         240
        .size:           2
        .value_kind:     hidden_group_size_z
      - .offset:         242
        .size:           2
        .value_kind:     hidden_remainder_x
      - .offset:         244
        .size:           2
        .value_kind:     hidden_remainder_y
      - .offset:         246
        .size:           2
        .value_kind:     hidden_remainder_z
      - .offset:         264
        .size:           8
        .value_kind:     hidden_global_offset_x
      - .offset:         272
        .size:           8
        .value_kind:     hidden_global_offset_y
      - .offset:         280
        .size:           8
        .value_kind:     hidden_global_offset_z
      - .offset:         288
        .size:           2
        .value_kind:     hidden_grid_dims
    .group_segment_fixed_size: 0
    .kernarg_segment_align: 8
    .kernarg_segment_size: 480
    .language:       OpenCL C
    .language_version:
      - 2
      - 0
    .max_flat_workgroup_size: 1024
    .name:           naive_conv_ab_nonpacked_bwd_nchw_ushort_double_ushort
    .private_segment_fixed_size: 0
    .sgpr_count:     72
    .sgpr_spill_count: 0
    .symbol:         naive_conv_ab_nonpacked_bwd_nchw_ushort_double_ushort.kd
    .uniform_work_group_size: 1
    .uses_dynamic_stack: false
    .vgpr_count:     18
    .vgpr_spill_count: 0
    .wavefront_size: 32
  - .args:
      - .address_space:  global
        .offset:         0
        .size:           8
        .value_kind:     global_buffer
      - .actual_access:  read_only
        .address_space:  global
        .offset:         8
        .size:           8
        .value_kind:     global_buffer
      - .offset:         16
        .size:           8
        .value_kind:     by_value
      - .offset:         24
        .size:           8
        .value_kind:     by_value
      - .actual_access:  read_only
        .address_space:  global
        .offset:         32
        .size:           8
        .value_kind:     global_buffer
      - .offset:         40
        .size:           40
        .value_kind:     by_value
      - .offset:         80
        .size:           40
        .value_kind:     by_value
      - .offset:         120
        .size:           40
        .value_kind:     by_value
      - .offset:         160
        .size:           4
        .value_kind:     by_value
      - .offset:         164
        .size:           4
        .value_kind:     by_value
      - .offset:         168
        .size:           4
        .value_kind:     by_value
      - .offset:         172
        .size:           4
        .value_kind:     by_value
      - .offset:         176
        .size:           4
        .value_kind:     by_value
      - .offset:         180
        .size:           4
        .value_kind:     by_value
      - .offset:         184
        .size:           4
        .value_kind:     by_value
      - .offset:         188
        .size:           4
        .value_kind:     by_value
      - .offset:         192
        .size:           4
        .value_kind:     by_value
      - .offset:         196
        .size:           4
        .value_kind:     by_value
      - .offset:         200
        .size:           4
        .value_kind:     by_value
      - .offset:         204
        .size:           4
        .value_kind:     by_value
      - .offset:         208
        .size:           4
        .value_kind:     by_value
      - .offset:         212
        .size:           4
        .value_kind:     by_value
      - .offset:         216
        .size:           4
        .value_kind:     by_value
      - .offset:         220
        .size:           4
        .value_kind:     by_value
      - .offset:         224
        .size:           4
        .value_kind:     hidden_block_count_x
      - .offset:         228
        .size:           4
        .value_kind:     hidden_block_count_y
      - .offset:         232
        .size:           4
        .value_kind:     hidden_block_count_z
      - .offset:         236
        .size:           2
        .value_kind:     hidden_group_size_x
      - .offset:         238
        .size:           2
        .value_kind:     hidden_group_size_y
      - .offset:         240
        .size:           2
        .value_kind:     hidden_group_size_z
      - .offset:         242
        .size:           2
        .value_kind:     hidden_remainder_x
      - .offset:         244
        .size:           2
        .value_kind:     hidden_remainder_y
      - .offset:         246
        .size:           2
        .value_kind:     hidden_remainder_z
      - .offset:         264
        .size:           8
        .value_kind:     hidden_global_offset_x
      - .offset:         272
        .size:           8
        .value_kind:     hidden_global_offset_y
      - .offset:         280
        .size:           8
        .value_kind:     hidden_global_offset_z
      - .offset:         288
        .size:           2
        .value_kind:     hidden_grid_dims
    .group_segment_fixed_size: 0
    .kernarg_segment_align: 8
    .kernarg_segment_size: 480
    .language:       OpenCL C
    .language_version:
      - 2
      - 0
    .max_flat_workgroup_size: 1024
    .name:           naive_conv_ab_packed_bwd_nhwc_float_double_float
    .private_segment_fixed_size: 0
    .sgpr_count:     71
    .sgpr_spill_count: 0
    .symbol:         naive_conv_ab_packed_bwd_nhwc_float_double_float.kd
    .uniform_work_group_size: 1
    .uses_dynamic_stack: false
    .vgpr_count:     26
    .vgpr_spill_count: 0
    .wavefront_size: 32
  - .args:
      - .address_space:  global
        .offset:         0
        .size:           8
        .value_kind:     global_buffer
      - .actual_access:  read_only
        .address_space:  global
        .offset:         8
        .size:           8
        .value_kind:     global_buffer
      - .offset:         16
        .size:           8
        .value_kind:     by_value
      - .offset:         24
        .size:           8
        .value_kind:     by_value
      - .actual_access:  read_only
        .address_space:  global
        .offset:         32
        .size:           8
        .value_kind:     global_buffer
      - .offset:         40
        .size:           40
        .value_kind:     by_value
      - .offset:         80
        .size:           40
        .value_kind:     by_value
      - .offset:         120
        .size:           40
        .value_kind:     by_value
      - .offset:         160
        .size:           4
        .value_kind:     by_value
      - .offset:         164
        .size:           4
        .value_kind:     by_value
      - .offset:         168
        .size:           4
        .value_kind:     by_value
      - .offset:         172
        .size:           4
        .value_kind:     by_value
      - .offset:         176
        .size:           4
        .value_kind:     by_value
      - .offset:         180
        .size:           4
        .value_kind:     by_value
      - .offset:         184
        .size:           4
        .value_kind:     by_value
      - .offset:         188
        .size:           4
        .value_kind:     by_value
      - .offset:         192
        .size:           4
        .value_kind:     by_value
      - .offset:         196
        .size:           4
        .value_kind:     by_value
      - .offset:         200
        .size:           4
        .value_kind:     by_value
      - .offset:         204
        .size:           4
        .value_kind:     by_value
      - .offset:         208
        .size:           4
        .value_kind:     by_value
      - .offset:         212
        .size:           4
        .value_kind:     by_value
      - .offset:         216
        .size:           4
        .value_kind:     by_value
      - .offset:         220
        .size:           4
        .value_kind:     by_value
      - .offset:         224
        .size:           4
        .value_kind:     hidden_block_count_x
      - .offset:         228
        .size:           4
        .value_kind:     hidden_block_count_y
      - .offset:         232
        .size:           4
        .value_kind:     hidden_block_count_z
      - .offset:         236
        .size:           2
        .value_kind:     hidden_group_size_x
      - .offset:         238
        .size:           2
        .value_kind:     hidden_group_size_y
      - .offset:         240
        .size:           2
        .value_kind:     hidden_group_size_z
      - .offset:         242
        .size:           2
        .value_kind:     hidden_remainder_x
      - .offset:         244
        .size:           2
        .value_kind:     hidden_remainder_y
      - .offset:         246
        .size:           2
        .value_kind:     hidden_remainder_z
      - .offset:         264
        .size:           8
        .value_kind:     hidden_global_offset_x
      - .offset:         272
        .size:           8
        .value_kind:     hidden_global_offset_y
      - .offset:         280
        .size:           8
        .value_kind:     hidden_global_offset_z
      - .offset:         288
        .size:           2
        .value_kind:     hidden_grid_dims
    .group_segment_fixed_size: 0
    .kernarg_segment_align: 8
    .kernarg_segment_size: 480
    .language:       OpenCL C
    .language_version:
      - 2
      - 0
    .max_flat_workgroup_size: 1024
    .name:           naive_conv_ab_nonpacked_bwd_nhwc_float_double_float
    .private_segment_fixed_size: 0
    .sgpr_count:     80
    .sgpr_spill_count: 0
    .symbol:         naive_conv_ab_nonpacked_bwd_nhwc_float_double_float.kd
    .uniform_work_group_size: 1
    .uses_dynamic_stack: false
    .vgpr_count:     28
    .vgpr_spill_count: 0
    .wavefront_size: 32
  - .args:
      - .address_space:  global
        .offset:         0
        .size:           8
        .value_kind:     global_buffer
      - .actual_access:  read_only
        .address_space:  global
        .offset:         8
        .size:           8
        .value_kind:     global_buffer
      - .offset:         16
        .size:           8
        .value_kind:     by_value
      - .offset:         24
        .size:           8
        .value_kind:     by_value
      - .actual_access:  read_only
        .address_space:  global
        .offset:         32
        .size:           8
        .value_kind:     global_buffer
      - .offset:         40
        .size:           40
        .value_kind:     by_value
      - .offset:         80
        .size:           40
        .value_kind:     by_value
      - .offset:         120
        .size:           40
        .value_kind:     by_value
      - .offset:         160
        .size:           4
        .value_kind:     by_value
      - .offset:         164
        .size:           4
        .value_kind:     by_value
      - .offset:         168
        .size:           4
        .value_kind:     by_value
      - .offset:         172
        .size:           4
        .value_kind:     by_value
      - .offset:         176
        .size:           4
        .value_kind:     by_value
      - .offset:         180
        .size:           4
        .value_kind:     by_value
      - .offset:         184
        .size:           4
        .value_kind:     by_value
      - .offset:         188
        .size:           4
        .value_kind:     by_value
      - .offset:         192
        .size:           4
        .value_kind:     by_value
      - .offset:         196
        .size:           4
        .value_kind:     by_value
      - .offset:         200
        .size:           4
        .value_kind:     by_value
      - .offset:         204
        .size:           4
        .value_kind:     by_value
      - .offset:         208
        .size:           4
        .value_kind:     by_value
      - .offset:         212
        .size:           4
        .value_kind:     by_value
      - .offset:         216
        .size:           4
        .value_kind:     by_value
      - .offset:         220
        .size:           4
        .value_kind:     by_value
      - .offset:         224
        .size:           4
        .value_kind:     hidden_block_count_x
      - .offset:         228
        .size:           4
        .value_kind:     hidden_block_count_y
      - .offset:         232
        .size:           4
        .value_kind:     hidden_block_count_z
      - .offset:         236
        .size:           2
        .value_kind:     hidden_group_size_x
      - .offset:         238
        .size:           2
        .value_kind:     hidden_group_size_y
      - .offset:         240
        .size:           2
        .value_kind:     hidden_group_size_z
      - .offset:         242
        .size:           2
        .value_kind:     hidden_remainder_x
      - .offset:         244
        .size:           2
        .value_kind:     hidden_remainder_y
      - .offset:         246
        .size:           2
        .value_kind:     hidden_remainder_z
      - .offset:         264
        .size:           8
        .value_kind:     hidden_global_offset_x
      - .offset:         272
        .size:           8
        .value_kind:     hidden_global_offset_y
      - .offset:         280
        .size:           8
        .value_kind:     hidden_global_offset_z
      - .offset:         288
        .size:           2
        .value_kind:     hidden_grid_dims
    .group_segment_fixed_size: 0
    .kernarg_segment_align: 8
    .kernarg_segment_size: 480
    .language:       OpenCL C
    .language_version:
      - 2
      - 0
    .max_flat_workgroup_size: 1024
    .name:           naive_conv_ab_packed_bwd_nhwc_half_double_half
    .private_segment_fixed_size: 0
    .sgpr_count:     71
    .sgpr_spill_count: 0
    .symbol:         naive_conv_ab_packed_bwd_nhwc_half_double_half.kd
    .uniform_work_group_size: 1
    .uses_dynamic_stack: false
    .vgpr_count:     26
    .vgpr_spill_count: 0
    .wavefront_size: 32
  - .args:
      - .address_space:  global
        .offset:         0
        .size:           8
        .value_kind:     global_buffer
      - .actual_access:  read_only
        .address_space:  global
        .offset:         8
        .size:           8
        .value_kind:     global_buffer
      - .offset:         16
        .size:           8
        .value_kind:     by_value
      - .offset:         24
        .size:           8
        .value_kind:     by_value
      - .actual_access:  read_only
        .address_space:  global
        .offset:         32
        .size:           8
        .value_kind:     global_buffer
      - .offset:         40
        .size:           40
        .value_kind:     by_value
      - .offset:         80
        .size:           40
        .value_kind:     by_value
      - .offset:         120
        .size:           40
        .value_kind:     by_value
      - .offset:         160
        .size:           4
        .value_kind:     by_value
      - .offset:         164
        .size:           4
        .value_kind:     by_value
      - .offset:         168
        .size:           4
        .value_kind:     by_value
      - .offset:         172
        .size:           4
        .value_kind:     by_value
      - .offset:         176
        .size:           4
        .value_kind:     by_value
      - .offset:         180
        .size:           4
        .value_kind:     by_value
      - .offset:         184
        .size:           4
        .value_kind:     by_value
      - .offset:         188
        .size:           4
        .value_kind:     by_value
      - .offset:         192
        .size:           4
        .value_kind:     by_value
      - .offset:         196
        .size:           4
        .value_kind:     by_value
      - .offset:         200
        .size:           4
        .value_kind:     by_value
      - .offset:         204
        .size:           4
        .value_kind:     by_value
      - .offset:         208
        .size:           4
        .value_kind:     by_value
      - .offset:         212
        .size:           4
        .value_kind:     by_value
      - .offset:         216
        .size:           4
        .value_kind:     by_value
      - .offset:         220
        .size:           4
        .value_kind:     by_value
      - .offset:         224
        .size:           4
        .value_kind:     hidden_block_count_x
      - .offset:         228
        .size:           4
        .value_kind:     hidden_block_count_y
      - .offset:         232
        .size:           4
        .value_kind:     hidden_block_count_z
      - .offset:         236
        .size:           2
        .value_kind:     hidden_group_size_x
      - .offset:         238
        .size:           2
        .value_kind:     hidden_group_size_y
      - .offset:         240
        .size:           2
        .value_kind:     hidden_group_size_z
      - .offset:         242
        .size:           2
        .value_kind:     hidden_remainder_x
      - .offset:         244
        .size:           2
        .value_kind:     hidden_remainder_y
      - .offset:         246
        .size:           2
        .value_kind:     hidden_remainder_z
      - .offset:         264
        .size:           8
        .value_kind:     hidden_global_offset_x
      - .offset:         272
        .size:           8
        .value_kind:     hidden_global_offset_y
      - .offset:         280
        .size:           8
        .value_kind:     hidden_global_offset_z
      - .offset:         288
        .size:           2
        .value_kind:     hidden_grid_dims
    .group_segment_fixed_size: 0
    .kernarg_segment_align: 8
    .kernarg_segment_size: 480
    .language:       OpenCL C
    .language_version:
      - 2
      - 0
    .max_flat_workgroup_size: 1024
    .name:           naive_conv_ab_nonpacked_bwd_nhwc_half_double_half
    .private_segment_fixed_size: 0
    .sgpr_count:     80
    .sgpr_spill_count: 0
    .symbol:         naive_conv_ab_nonpacked_bwd_nhwc_half_double_half.kd
    .uniform_work_group_size: 1
    .uses_dynamic_stack: false
    .vgpr_count:     28
    .vgpr_spill_count: 0
    .wavefront_size: 32
  - .args:
      - .address_space:  global
        .offset:         0
        .size:           8
        .value_kind:     global_buffer
      - .actual_access:  read_only
        .address_space:  global
        .offset:         8
        .size:           8
        .value_kind:     global_buffer
      - .offset:         16
        .size:           8
        .value_kind:     by_value
      - .offset:         24
        .size:           8
        .value_kind:     by_value
      - .actual_access:  read_only
        .address_space:  global
        .offset:         32
        .size:           8
        .value_kind:     global_buffer
      - .offset:         40
        .size:           40
        .value_kind:     by_value
      - .offset:         80
        .size:           40
        .value_kind:     by_value
      - .offset:         120
        .size:           40
        .value_kind:     by_value
      - .offset:         160
        .size:           4
        .value_kind:     by_value
      - .offset:         164
        .size:           4
        .value_kind:     by_value
      - .offset:         168
        .size:           4
        .value_kind:     by_value
      - .offset:         172
        .size:           4
        .value_kind:     by_value
      - .offset:         176
        .size:           4
        .value_kind:     by_value
      - .offset:         180
        .size:           4
        .value_kind:     by_value
      - .offset:         184
        .size:           4
        .value_kind:     by_value
      - .offset:         188
        .size:           4
        .value_kind:     by_value
      - .offset:         192
        .size:           4
        .value_kind:     by_value
      - .offset:         196
        .size:           4
        .value_kind:     by_value
      - .offset:         200
        .size:           4
        .value_kind:     by_value
      - .offset:         204
        .size:           4
        .value_kind:     by_value
      - .offset:         208
        .size:           4
        .value_kind:     by_value
      - .offset:         212
        .size:           4
        .value_kind:     by_value
      - .offset:         216
        .size:           4
        .value_kind:     by_value
      - .offset:         220
        .size:           4
        .value_kind:     by_value
      - .offset:         224
        .size:           4
        .value_kind:     hidden_block_count_x
      - .offset:         228
        .size:           4
        .value_kind:     hidden_block_count_y
      - .offset:         232
        .size:           4
        .value_kind:     hidden_block_count_z
      - .offset:         236
        .size:           2
        .value_kind:     hidden_group_size_x
      - .offset:         238
        .size:           2
        .value_kind:     hidden_group_size_y
      - .offset:         240
        .size:           2
        .value_kind:     hidden_group_size_z
      - .offset:         242
        .size:           2
        .value_kind:     hidden_remainder_x
      - .offset:         244
        .size:           2
        .value_kind:     hidden_remainder_y
      - .offset:         246
        .size:           2
        .value_kind:     hidden_remainder_z
      - .offset:         264
        .size:           8
        .value_kind:     hidden_global_offset_x
      - .offset:         272
        .size:           8
        .value_kind:     hidden_global_offset_y
      - .offset:         280
        .size:           8
        .value_kind:     hidden_global_offset_z
      - .offset:         288
        .size:           2
        .value_kind:     hidden_grid_dims
    .group_segment_fixed_size: 0
    .kernarg_segment_align: 8
    .kernarg_segment_size: 480
    .language:       OpenCL C
    .language_version:
      - 2
      - 0
    .max_flat_workgroup_size: 1024
    .name:           naive_conv_ab_packed_bwd_nhwc_ushort_double_ushort
    .private_segment_fixed_size: 0
    .sgpr_count:     71
    .sgpr_spill_count: 0
    .symbol:         naive_conv_ab_packed_bwd_nhwc_ushort_double_ushort.kd
    .uniform_work_group_size: 1
    .uses_dynamic_stack: false
    .vgpr_count:     26
    .vgpr_spill_count: 0
    .wavefront_size: 32
  - .args:
      - .address_space:  global
        .offset:         0
        .size:           8
        .value_kind:     global_buffer
      - .actual_access:  read_only
        .address_space:  global
        .offset:         8
        .size:           8
        .value_kind:     global_buffer
      - .offset:         16
        .size:           8
        .value_kind:     by_value
      - .offset:         24
        .size:           8
        .value_kind:     by_value
      - .actual_access:  read_only
        .address_space:  global
        .offset:         32
        .size:           8
        .value_kind:     global_buffer
      - .offset:         40
        .size:           40
        .value_kind:     by_value
      - .offset:         80
        .size:           40
        .value_kind:     by_value
      - .offset:         120
        .size:           40
        .value_kind:     by_value
      - .offset:         160
        .size:           4
        .value_kind:     by_value
      - .offset:         164
        .size:           4
        .value_kind:     by_value
      - .offset:         168
        .size:           4
        .value_kind:     by_value
      - .offset:         172
        .size:           4
        .value_kind:     by_value
      - .offset:         176
        .size:           4
        .value_kind:     by_value
      - .offset:         180
        .size:           4
        .value_kind:     by_value
      - .offset:         184
        .size:           4
        .value_kind:     by_value
      - .offset:         188
        .size:           4
        .value_kind:     by_value
      - .offset:         192
        .size:           4
        .value_kind:     by_value
      - .offset:         196
        .size:           4
        .value_kind:     by_value
      - .offset:         200
        .size:           4
        .value_kind:     by_value
      - .offset:         204
        .size:           4
        .value_kind:     by_value
      - .offset:         208
        .size:           4
        .value_kind:     by_value
      - .offset:         212
        .size:           4
        .value_kind:     by_value
      - .offset:         216
        .size:           4
        .value_kind:     by_value
      - .offset:         220
        .size:           4
        .value_kind:     by_value
      - .offset:         224
        .size:           4
        .value_kind:     hidden_block_count_x
      - .offset:         228
        .size:           4
        .value_kind:     hidden_block_count_y
      - .offset:         232
        .size:           4
        .value_kind:     hidden_block_count_z
      - .offset:         236
        .size:           2
        .value_kind:     hidden_group_size_x
      - .offset:         238
        .size:           2
        .value_kind:     hidden_group_size_y
      - .offset:         240
        .size:           2
        .value_kind:     hidden_group_size_z
      - .offset:         242
        .size:           2
        .value_kind:     hidden_remainder_x
      - .offset:         244
        .size:           2
        .value_kind:     hidden_remainder_y
      - .offset:         246
        .size:           2
        .value_kind:     hidden_remainder_z
      - .offset:         264
        .size:           8
        .value_kind:     hidden_global_offset_x
      - .offset:         272
        .size:           8
        .value_kind:     hidden_global_offset_y
      - .offset:         280
        .size:           8
        .value_kind:     hidden_global_offset_z
      - .offset:         288
        .size:           2
        .value_kind:     hidden_grid_dims
    .group_segment_fixed_size: 0
    .kernarg_segment_align: 8
    .kernarg_segment_size: 480
    .language:       OpenCL C
    .language_version:
      - 2
      - 0
    .max_flat_workgroup_size: 1024
    .name:           naive_conv_ab_nonpacked_bwd_nhwc_ushort_double_ushort
    .private_segment_fixed_size: 0
    .sgpr_count:     80
    .sgpr_spill_count: 0
    .symbol:         naive_conv_ab_nonpacked_bwd_nhwc_ushort_double_ushort.kd
    .uniform_work_group_size: 1
    .uses_dynamic_stack: false
    .vgpr_count:     28
    .vgpr_spill_count: 0
    .wavefront_size: 32
  - .args:
      - .actual_access:  read_only
        .address_space:  global
        .offset:         0
        .size:           8
        .value_kind:     global_buffer
      - .address_space:  global
        .offset:         8
        .size:           8
        .value_kind:     global_buffer
      - .offset:         16
        .size:           8
        .value_kind:     by_value
      - .offset:         24
        .size:           8
        .value_kind:     by_value
      - .actual_access:  read_only
        .address_space:  global
        .offset:         32
        .size:           8
        .value_kind:     global_buffer
      - .offset:         40
        .size:           40
        .value_kind:     by_value
      - .offset:         80
        .size:           40
        .value_kind:     by_value
      - .offset:         120
        .size:           40
        .value_kind:     by_value
      - .offset:         160
        .size:           4
        .value_kind:     by_value
      - .offset:         164
        .size:           4
        .value_kind:     by_value
      - .offset:         168
        .size:           4
        .value_kind:     by_value
      - .offset:         172
        .size:           4
        .value_kind:     by_value
      - .offset:         176
        .size:           4
        .value_kind:     by_value
      - .offset:         180
        .size:           4
        .value_kind:     by_value
      - .offset:         184
        .size:           4
        .value_kind:     by_value
      - .offset:         188
        .size:           4
        .value_kind:     by_value
      - .offset:         192
        .size:           4
        .value_kind:     by_value
      - .offset:         196
        .size:           4
        .value_kind:     by_value
      - .offset:         200
        .size:           4
        .value_kind:     by_value
      - .offset:         204
        .size:           4
        .value_kind:     by_value
      - .offset:         208
        .size:           4
        .value_kind:     by_value
      - .offset:         212
        .size:           4
        .value_kind:     by_value
      - .offset:         216
        .size:           4
        .value_kind:     by_value
      - .offset:         220
        .size:           4
        .value_kind:     by_value
      - .offset:         224
        .size:           4
        .value_kind:     hidden_block_count_x
      - .offset:         228
        .size:           4
        .value_kind:     hidden_block_count_y
      - .offset:         232
        .size:           4
        .value_kind:     hidden_block_count_z
      - .offset:         236
        .size:           2
        .value_kind:     hidden_group_size_x
      - .offset:         238
        .size:           2
        .value_kind:     hidden_group_size_y
      - .offset:         240
        .size:           2
        .value_kind:     hidden_group_size_z
      - .offset:         242
        .size:           2
        .value_kind:     hidden_remainder_x
      - .offset:         244
        .size:           2
        .value_kind:     hidden_remainder_y
      - .offset:         246
        .size:           2
        .value_kind:     hidden_remainder_z
      - .offset:         264
        .size:           8
        .value_kind:     hidden_global_offset_x
      - .offset:         272
        .size:           8
        .value_kind:     hidden_global_offset_y
      - .offset:         280
        .size:           8
        .value_kind:     hidden_global_offset_z
      - .offset:         288
        .size:           2
        .value_kind:     hidden_grid_dims
    .group_segment_fixed_size: 0
    .kernarg_segment_align: 8
    .kernarg_segment_size: 480
    .language:       OpenCL C
    .language_version:
      - 2
      - 0
    .max_flat_workgroup_size: 1024
    .name:           naive_conv_ab_packed_wrw_nchw_float_double_float
    .private_segment_fixed_size: 0
    .sgpr_count:     65
    .sgpr_spill_count: 0
    .symbol:         naive_conv_ab_packed_wrw_nchw_float_double_float.kd
    .uniform_work_group_size: 1
    .uses_dynamic_stack: false
    .vgpr_count:     20
    .vgpr_spill_count: 0
    .wavefront_size: 32
  - .args:
      - .actual_access:  read_only
        .address_space:  global
        .offset:         0
        .size:           8
        .value_kind:     global_buffer
      - .address_space:  global
        .offset:         8
        .size:           8
        .value_kind:     global_buffer
      - .offset:         16
        .size:           8
        .value_kind:     by_value
      - .offset:         24
        .size:           8
        .value_kind:     by_value
      - .actual_access:  read_only
        .address_space:  global
        .offset:         32
        .size:           8
        .value_kind:     global_buffer
      - .offset:         40
        .size:           40
        .value_kind:     by_value
      - .offset:         80
        .size:           40
        .value_kind:     by_value
      - .offset:         120
        .size:           40
        .value_kind:     by_value
      - .offset:         160
        .size:           4
        .value_kind:     by_value
      - .offset:         164
        .size:           4
        .value_kind:     by_value
      - .offset:         168
        .size:           4
        .value_kind:     by_value
      - .offset:         172
        .size:           4
        .value_kind:     by_value
      - .offset:         176
        .size:           4
        .value_kind:     by_value
      - .offset:         180
        .size:           4
        .value_kind:     by_value
      - .offset:         184
        .size:           4
        .value_kind:     by_value
      - .offset:         188
        .size:           4
        .value_kind:     by_value
      - .offset:         192
        .size:           4
        .value_kind:     by_value
      - .offset:         196
        .size:           4
        .value_kind:     by_value
      - .offset:         200
        .size:           4
        .value_kind:     by_value
      - .offset:         204
        .size:           4
        .value_kind:     by_value
      - .offset:         208
        .size:           4
        .value_kind:     by_value
      - .offset:         212
        .size:           4
        .value_kind:     by_value
      - .offset:         216
        .size:           4
        .value_kind:     by_value
      - .offset:         220
        .size:           4
        .value_kind:     by_value
      - .offset:         224
        .size:           4
        .value_kind:     hidden_block_count_x
      - .offset:         228
        .size:           4
        .value_kind:     hidden_block_count_y
      - .offset:         232
        .size:           4
        .value_kind:     hidden_block_count_z
      - .offset:         236
        .size:           2
        .value_kind:     hidden_group_size_x
      - .offset:         238
        .size:           2
        .value_kind:     hidden_group_size_y
      - .offset:         240
        .size:           2
        .value_kind:     hidden_group_size_z
      - .offset:         242
        .size:           2
        .value_kind:     hidden_remainder_x
      - .offset:         244
        .size:           2
        .value_kind:     hidden_remainder_y
      - .offset:         246
        .size:           2
        .value_kind:     hidden_remainder_z
      - .offset:         264
        .size:           8
        .value_kind:     hidden_global_offset_x
      - .offset:         272
        .size:           8
        .value_kind:     hidden_global_offset_y
      - .offset:         280
        .size:           8
        .value_kind:     hidden_global_offset_z
      - .offset:         288
        .size:           2
        .value_kind:     hidden_grid_dims
    .group_segment_fixed_size: 0
    .kernarg_segment_align: 8
    .kernarg_segment_size: 480
    .language:       OpenCL C
    .language_version:
      - 2
      - 0
    .max_flat_workgroup_size: 1024
    .name:           naive_conv_ab_nonpacked_wrw_nchw_float_double_float
    .private_segment_fixed_size: 0
    .sgpr_count:     76
    .sgpr_spill_count: 0
    .symbol:         naive_conv_ab_nonpacked_wrw_nchw_float_double_float.kd
    .uniform_work_group_size: 1
    .uses_dynamic_stack: false
    .vgpr_count:     22
    .vgpr_spill_count: 0
    .wavefront_size: 32
  - .args:
      - .actual_access:  read_only
        .address_space:  global
        .offset:         0
        .size:           8
        .value_kind:     global_buffer
      - .address_space:  global
        .offset:         8
        .size:           8
        .value_kind:     global_buffer
      - .offset:         16
        .size:           8
        .value_kind:     by_value
      - .offset:         24
        .size:           8
        .value_kind:     by_value
      - .actual_access:  read_only
        .address_space:  global
        .offset:         32
        .size:           8
        .value_kind:     global_buffer
      - .offset:         40
        .size:           40
        .value_kind:     by_value
      - .offset:         80
        .size:           40
        .value_kind:     by_value
      - .offset:         120
        .size:           40
        .value_kind:     by_value
      - .offset:         160
        .size:           4
        .value_kind:     by_value
      - .offset:         164
        .size:           4
        .value_kind:     by_value
      - .offset:         168
        .size:           4
        .value_kind:     by_value
      - .offset:         172
        .size:           4
        .value_kind:     by_value
      - .offset:         176
        .size:           4
        .value_kind:     by_value
      - .offset:         180
        .size:           4
        .value_kind:     by_value
      - .offset:         184
        .size:           4
        .value_kind:     by_value
      - .offset:         188
        .size:           4
        .value_kind:     by_value
      - .offset:         192
        .size:           4
        .value_kind:     by_value
      - .offset:         196
        .size:           4
        .value_kind:     by_value
      - .offset:         200
        .size:           4
        .value_kind:     by_value
      - .offset:         204
        .size:           4
        .value_kind:     by_value
      - .offset:         208
        .size:           4
        .value_kind:     by_value
      - .offset:         212
        .size:           4
        .value_kind:     by_value
      - .offset:         216
        .size:           4
        .value_kind:     by_value
      - .offset:         220
        .size:           4
        .value_kind:     by_value
      - .offset:         224
        .size:           4
        .value_kind:     hidden_block_count_x
      - .offset:         228
        .size:           4
        .value_kind:     hidden_block_count_y
      - .offset:         232
        .size:           4
        .value_kind:     hidden_block_count_z
      - .offset:         236
        .size:           2
        .value_kind:     hidden_group_size_x
      - .offset:         238
        .size:           2
        .value_kind:     hidden_group_size_y
      - .offset:         240
        .size:           2
        .value_kind:     hidden_group_size_z
      - .offset:         242
        .size:           2
        .value_kind:     hidden_remainder_x
      - .offset:         244
        .size:           2
        .value_kind:     hidden_remainder_y
      - .offset:         246
        .size:           2
        .value_kind:     hidden_remainder_z
      - .offset:         264
        .size:           8
        .value_kind:     hidden_global_offset_x
      - .offset:         272
        .size:           8
        .value_kind:     hidden_global_offset_y
      - .offset:         280
        .size:           8
        .value_kind:     hidden_global_offset_z
      - .offset:         288
        .size:           2
        .value_kind:     hidden_grid_dims
    .group_segment_fixed_size: 0
    .kernarg_segment_align: 8
    .kernarg_segment_size: 480
    .language:       OpenCL C
    .language_version:
      - 2
      - 0
    .max_flat_workgroup_size: 1024
    .name:           naive_conv_ab_packed_wrw_nchw_half_double_half
    .private_segment_fixed_size: 0
    .sgpr_count:     65
    .sgpr_spill_count: 0
    .symbol:         naive_conv_ab_packed_wrw_nchw_half_double_half.kd
    .uniform_work_group_size: 1
    .uses_dynamic_stack: false
    .vgpr_count:     20
    .vgpr_spill_count: 0
    .wavefront_size: 32
  - .args:
      - .actual_access:  read_only
        .address_space:  global
        .offset:         0
        .size:           8
        .value_kind:     global_buffer
      - .address_space:  global
        .offset:         8
        .size:           8
        .value_kind:     global_buffer
      - .offset:         16
        .size:           8
        .value_kind:     by_value
      - .offset:         24
        .size:           8
        .value_kind:     by_value
      - .actual_access:  read_only
        .address_space:  global
        .offset:         32
        .size:           8
        .value_kind:     global_buffer
      - .offset:         40
        .size:           40
        .value_kind:     by_value
      - .offset:         80
        .size:           40
        .value_kind:     by_value
      - .offset:         120
        .size:           40
        .value_kind:     by_value
      - .offset:         160
        .size:           4
        .value_kind:     by_value
      - .offset:         164
        .size:           4
        .value_kind:     by_value
      - .offset:         168
        .size:           4
        .value_kind:     by_value
      - .offset:         172
        .size:           4
        .value_kind:     by_value
      - .offset:         176
        .size:           4
        .value_kind:     by_value
      - .offset:         180
        .size:           4
        .value_kind:     by_value
      - .offset:         184
        .size:           4
        .value_kind:     by_value
      - .offset:         188
        .size:           4
        .value_kind:     by_value
      - .offset:         192
        .size:           4
        .value_kind:     by_value
      - .offset:         196
        .size:           4
        .value_kind:     by_value
      - .offset:         200
        .size:           4
        .value_kind:     by_value
      - .offset:         204
        .size:           4
        .value_kind:     by_value
      - .offset:         208
        .size:           4
        .value_kind:     by_value
      - .offset:         212
        .size:           4
        .value_kind:     by_value
      - .offset:         216
        .size:           4
        .value_kind:     by_value
      - .offset:         220
        .size:           4
        .value_kind:     by_value
      - .offset:         224
        .size:           4
        .value_kind:     hidden_block_count_x
      - .offset:         228
        .size:           4
        .value_kind:     hidden_block_count_y
      - .offset:         232
        .size:           4
        .value_kind:     hidden_block_count_z
      - .offset:         236
        .size:           2
        .value_kind:     hidden_group_size_x
      - .offset:         238
        .size:           2
        .value_kind:     hidden_group_size_y
      - .offset:         240
        .size:           2
        .value_kind:     hidden_group_size_z
      - .offset:         242
        .size:           2
        .value_kind:     hidden_remainder_x
      - .offset:         244
        .size:           2
        .value_kind:     hidden_remainder_y
      - .offset:         246
        .size:           2
        .value_kind:     hidden_remainder_z
      - .offset:         264
        .size:           8
        .value_kind:     hidden_global_offset_x
      - .offset:         272
        .size:           8
        .value_kind:     hidden_global_offset_y
      - .offset:         280
        .size:           8
        .value_kind:     hidden_global_offset_z
      - .offset:         288
        .size:           2
        .value_kind:     hidden_grid_dims
    .group_segment_fixed_size: 0
    .kernarg_segment_align: 8
    .kernarg_segment_size: 480
    .language:       OpenCL C
    .language_version:
      - 2
      - 0
    .max_flat_workgroup_size: 1024
    .name:           naive_conv_ab_nonpacked_wrw_nchw_half_double_half
    .private_segment_fixed_size: 0
    .sgpr_count:     76
    .sgpr_spill_count: 0
    .symbol:         naive_conv_ab_nonpacked_wrw_nchw_half_double_half.kd
    .uniform_work_group_size: 1
    .uses_dynamic_stack: false
    .vgpr_count:     22
    .vgpr_spill_count: 0
    .wavefront_size: 32
  - .args:
      - .actual_access:  read_only
        .address_space:  global
        .offset:         0
        .size:           8
        .value_kind:     global_buffer
      - .address_space:  global
        .offset:         8
        .size:           8
        .value_kind:     global_buffer
      - .offset:         16
        .size:           8
        .value_kind:     by_value
      - .offset:         24
        .size:           8
        .value_kind:     by_value
      - .actual_access:  read_only
        .address_space:  global
        .offset:         32
        .size:           8
        .value_kind:     global_buffer
      - .offset:         40
        .size:           40
        .value_kind:     by_value
      - .offset:         80
        .size:           40
        .value_kind:     by_value
      - .offset:         120
        .size:           40
        .value_kind:     by_value
      - .offset:         160
        .size:           4
        .value_kind:     by_value
      - .offset:         164
        .size:           4
        .value_kind:     by_value
      - .offset:         168
        .size:           4
        .value_kind:     by_value
      - .offset:         172
        .size:           4
        .value_kind:     by_value
      - .offset:         176
        .size:           4
        .value_kind:     by_value
      - .offset:         180
        .size:           4
        .value_kind:     by_value
      - .offset:         184
        .size:           4
        .value_kind:     by_value
      - .offset:         188
        .size:           4
        .value_kind:     by_value
      - .offset:         192
        .size:           4
        .value_kind:     by_value
      - .offset:         196
        .size:           4
        .value_kind:     by_value
      - .offset:         200
        .size:           4
        .value_kind:     by_value
      - .offset:         204
        .size:           4
        .value_kind:     by_value
      - .offset:         208
        .size:           4
        .value_kind:     by_value
      - .offset:         212
        .size:           4
        .value_kind:     by_value
      - .offset:         216
        .size:           4
        .value_kind:     by_value
      - .offset:         220
        .size:           4
        .value_kind:     by_value
      - .offset:         224
        .size:           4
        .value_kind:     hidden_block_count_x
      - .offset:         228
        .size:           4
        .value_kind:     hidden_block_count_y
      - .offset:         232
        .size:           4
        .value_kind:     hidden_block_count_z
      - .offset:         236
        .size:           2
        .value_kind:     hidden_group_size_x
      - .offset:         238
        .size:           2
        .value_kind:     hidden_group_size_y
      - .offset:         240
        .size:           2
        .value_kind:     hidden_group_size_z
      - .offset:         242
        .size:           2
        .value_kind:     hidden_remainder_x
      - .offset:         244
        .size:           2
        .value_kind:     hidden_remainder_y
      - .offset:         246
        .size:           2
        .value_kind:     hidden_remainder_z
      - .offset:         264
        .size:           8
        .value_kind:     hidden_global_offset_x
      - .offset:         272
        .size:           8
        .value_kind:     hidden_global_offset_y
      - .offset:         280
        .size:           8
        .value_kind:     hidden_global_offset_z
      - .offset:         288
        .size:           2
        .value_kind:     hidden_grid_dims
    .group_segment_fixed_size: 0
    .kernarg_segment_align: 8
    .kernarg_segment_size: 480
    .language:       OpenCL C
    .language_version:
      - 2
      - 0
    .max_flat_workgroup_size: 1024
    .name:           naive_conv_ab_packed_wrw_nchw_ushort_double_ushort
    .private_segment_fixed_size: 0
    .sgpr_count:     65
    .sgpr_spill_count: 0
    .symbol:         naive_conv_ab_packed_wrw_nchw_ushort_double_ushort.kd
    .uniform_work_group_size: 1
    .uses_dynamic_stack: false
    .vgpr_count:     20
    .vgpr_spill_count: 0
    .wavefront_size: 32
  - .args:
      - .actual_access:  read_only
        .address_space:  global
        .offset:         0
        .size:           8
        .value_kind:     global_buffer
      - .address_space:  global
        .offset:         8
        .size:           8
        .value_kind:     global_buffer
      - .offset:         16
        .size:           8
        .value_kind:     by_value
      - .offset:         24
        .size:           8
        .value_kind:     by_value
      - .actual_access:  read_only
        .address_space:  global
        .offset:         32
        .size:           8
        .value_kind:     global_buffer
      - .offset:         40
        .size:           40
        .value_kind:     by_value
      - .offset:         80
        .size:           40
        .value_kind:     by_value
      - .offset:         120
        .size:           40
        .value_kind:     by_value
      - .offset:         160
        .size:           4
        .value_kind:     by_value
      - .offset:         164
        .size:           4
        .value_kind:     by_value
      - .offset:         168
        .size:           4
        .value_kind:     by_value
      - .offset:         172
        .size:           4
        .value_kind:     by_value
      - .offset:         176
        .size:           4
        .value_kind:     by_value
      - .offset:         180
        .size:           4
        .value_kind:     by_value
      - .offset:         184
        .size:           4
        .value_kind:     by_value
      - .offset:         188
        .size:           4
        .value_kind:     by_value
      - .offset:         192
        .size:           4
        .value_kind:     by_value
      - .offset:         196
        .size:           4
        .value_kind:     by_value
      - .offset:         200
        .size:           4
        .value_kind:     by_value
      - .offset:         204
        .size:           4
        .value_kind:     by_value
      - .offset:         208
        .size:           4
        .value_kind:     by_value
      - .offset:         212
        .size:           4
        .value_kind:     by_value
      - .offset:         216
        .size:           4
        .value_kind:     by_value
      - .offset:         220
        .size:           4
        .value_kind:     by_value
      - .offset:         224
        .size:           4
        .value_kind:     hidden_block_count_x
      - .offset:         228
        .size:           4
        .value_kind:     hidden_block_count_y
      - .offset:         232
        .size:           4
        .value_kind:     hidden_block_count_z
      - .offset:         236
        .size:           2
        .value_kind:     hidden_group_size_x
      - .offset:         238
        .size:           2
        .value_kind:     hidden_group_size_y
      - .offset:         240
        .size:           2
        .value_kind:     hidden_group_size_z
      - .offset:         242
        .size:           2
        .value_kind:     hidden_remainder_x
      - .offset:         244
        .size:           2
        .value_kind:     hidden_remainder_y
      - .offset:         246
        .size:           2
        .value_kind:     hidden_remainder_z
      - .offset:         264
        .size:           8
        .value_kind:     hidden_global_offset_x
      - .offset:         272
        .size:           8
        .value_kind:     hidden_global_offset_y
      - .offset:         280
        .size:           8
        .value_kind:     hidden_global_offset_z
      - .offset:         288
        .size:           2
        .value_kind:     hidden_grid_dims
    .group_segment_fixed_size: 0
    .kernarg_segment_align: 8
    .kernarg_segment_size: 480
    .language:       OpenCL C
    .language_version:
      - 2
      - 0
    .max_flat_workgroup_size: 1024
    .name:           naive_conv_ab_nonpacked_wrw_nchw_ushort_double_ushort
    .private_segment_fixed_size: 0
    .sgpr_count:     76
    .sgpr_spill_count: 0
    .symbol:         naive_conv_ab_nonpacked_wrw_nchw_ushort_double_ushort.kd
    .uniform_work_group_size: 1
    .uses_dynamic_stack: false
    .vgpr_count:     22
    .vgpr_spill_count: 0
    .wavefront_size: 32
  - .args:
      - .actual_access:  read_only
        .address_space:  global
        .offset:         0
        .size:           8
        .value_kind:     global_buffer
      - .address_space:  global
        .offset:         8
        .size:           8
        .value_kind:     global_buffer
      - .offset:         16
        .size:           8
        .value_kind:     by_value
      - .offset:         24
        .size:           8
        .value_kind:     by_value
      - .actual_access:  read_only
        .address_space:  global
        .offset:         32
        .size:           8
        .value_kind:     global_buffer
      - .offset:         40
        .size:           40
        .value_kind:     by_value
      - .offset:         80
        .size:           40
        .value_kind:     by_value
      - .offset:         120
        .size:           40
        .value_kind:     by_value
      - .offset:         160
        .size:           4
        .value_kind:     by_value
      - .offset:         164
        .size:           4
        .value_kind:     by_value
      - .offset:         168
        .size:           4
        .value_kind:     by_value
      - .offset:         172
        .size:           4
        .value_kind:     by_value
      - .offset:         176
        .size:           4
        .value_kind:     by_value
      - .offset:         180
        .size:           4
        .value_kind:     by_value
      - .offset:         184
        .size:           4
        .value_kind:     by_value
      - .offset:         188
        .size:           4
        .value_kind:     by_value
      - .offset:         192
        .size:           4
        .value_kind:     by_value
      - .offset:         196
        .size:           4
        .value_kind:     by_value
      - .offset:         200
        .size:           4
        .value_kind:     by_value
      - .offset:         204
        .size:           4
        .value_kind:     by_value
      - .offset:         208
        .size:           4
        .value_kind:     by_value
      - .offset:         212
        .size:           4
        .value_kind:     by_value
      - .offset:         216
        .size:           4
        .value_kind:     by_value
      - .offset:         220
        .size:           4
        .value_kind:     by_value
      - .offset:         224
        .size:           4
        .value_kind:     hidden_block_count_x
      - .offset:         228
        .size:           4
        .value_kind:     hidden_block_count_y
      - .offset:         232
        .size:           4
        .value_kind:     hidden_block_count_z
      - .offset:         236
        .size:           2
        .value_kind:     hidden_group_size_x
      - .offset:         238
        .size:           2
        .value_kind:     hidden_group_size_y
      - .offset:         240
        .size:           2
        .value_kind:     hidden_group_size_z
      - .offset:         242
        .size:           2
        .value_kind:     hidden_remainder_x
      - .offset:         244
        .size:           2
        .value_kind:     hidden_remainder_y
      - .offset:         246
        .size:           2
        .value_kind:     hidden_remainder_z
      - .offset:         264
        .size:           8
        .value_kind:     hidden_global_offset_x
      - .offset:         272
        .size:           8
        .value_kind:     hidden_global_offset_y
      - .offset:         280
        .size:           8
        .value_kind:     hidden_global_offset_z
      - .offset:         288
        .size:           2
        .value_kind:     hidden_grid_dims
    .group_segment_fixed_size: 0
    .kernarg_segment_align: 8
    .kernarg_segment_size: 480
    .language:       OpenCL C
    .language_version:
      - 2
      - 0
    .max_flat_workgroup_size: 1024
    .name:           naive_conv_ab_packed_wrw_nhwc_float_double_float
    .private_segment_fixed_size: 0
    .sgpr_count:     71
    .sgpr_spill_count: 0
    .symbol:         naive_conv_ab_packed_wrw_nhwc_float_double_float.kd
    .uniform_work_group_size: 1
    .uses_dynamic_stack: false
    .vgpr_count:     20
    .vgpr_spill_count: 0
    .wavefront_size: 32
  - .args:
      - .actual_access:  read_only
        .address_space:  global
        .offset:         0
        .size:           8
        .value_kind:     global_buffer
      - .address_space:  global
        .offset:         8
        .size:           8
        .value_kind:     global_buffer
      - .offset:         16
        .size:           8
        .value_kind:     by_value
      - .offset:         24
        .size:           8
        .value_kind:     by_value
      - .actual_access:  read_only
        .address_space:  global
        .offset:         32
        .size:           8
        .value_kind:     global_buffer
      - .offset:         40
        .size:           40
        .value_kind:     by_value
      - .offset:         80
        .size:           40
        .value_kind:     by_value
      - .offset:         120
        .size:           40
        .value_kind:     by_value
      - .offset:         160
        .size:           4
        .value_kind:     by_value
      - .offset:         164
        .size:           4
        .value_kind:     by_value
      - .offset:         168
        .size:           4
        .value_kind:     by_value
      - .offset:         172
        .size:           4
        .value_kind:     by_value
      - .offset:         176
        .size:           4
        .value_kind:     by_value
      - .offset:         180
        .size:           4
        .value_kind:     by_value
      - .offset:         184
        .size:           4
        .value_kind:     by_value
      - .offset:         188
        .size:           4
        .value_kind:     by_value
      - .offset:         192
        .size:           4
        .value_kind:     by_value
      - .offset:         196
        .size:           4
        .value_kind:     by_value
      - .offset:         200
        .size:           4
        .value_kind:     by_value
      - .offset:         204
        .size:           4
        .value_kind:     by_value
      - .offset:         208
        .size:           4
        .value_kind:     by_value
      - .offset:         212
        .size:           4
        .value_kind:     by_value
      - .offset:         216
        .size:           4
        .value_kind:     by_value
      - .offset:         220
        .size:           4
        .value_kind:     by_value
      - .offset:         224
        .size:           4
        .value_kind:     hidden_block_count_x
      - .offset:         228
        .size:           4
        .value_kind:     hidden_block_count_y
      - .offset:         232
        .size:           4
        .value_kind:     hidden_block_count_z
      - .offset:         236
        .size:           2
        .value_kind:     hidden_group_size_x
      - .offset:         238
        .size:           2
        .value_kind:     hidden_group_size_y
      - .offset:         240
        .size:           2
        .value_kind:     hidden_group_size_z
      - .offset:         242
        .size:           2
        .value_kind:     hidden_remainder_x
      - .offset:         244
        .size:           2
        .value_kind:     hidden_remainder_y
      - .offset:         246
        .size:           2
        .value_kind:     hidden_remainder_z
      - .offset:         264
        .size:           8
        .value_kind:     hidden_global_offset_x
      - .offset:         272
        .size:           8
        .value_kind:     hidden_global_offset_y
      - .offset:         280
        .size:           8
        .value_kind:     hidden_global_offset_z
      - .offset:         288
        .size:           2
        .value_kind:     hidden_grid_dims
    .group_segment_fixed_size: 0
    .kernarg_segment_align: 8
    .kernarg_segment_size: 480
    .language:       OpenCL C
    .language_version:
      - 2
      - 0
    .max_flat_workgroup_size: 1024
    .name:           naive_conv_ab_nonpacked_wrw_nhwc_float_double_float
    .private_segment_fixed_size: 0
    .sgpr_count:     76
    .sgpr_spill_count: 0
    .symbol:         naive_conv_ab_nonpacked_wrw_nhwc_float_double_float.kd
    .uniform_work_group_size: 1
    .uses_dynamic_stack: false
    .vgpr_count:     22
    .vgpr_spill_count: 0
    .wavefront_size: 32
  - .args:
      - .actual_access:  read_only
        .address_space:  global
        .offset:         0
        .size:           8
        .value_kind:     global_buffer
      - .address_space:  global
        .offset:         8
        .size:           8
        .value_kind:     global_buffer
      - .offset:         16
        .size:           8
        .value_kind:     by_value
      - .offset:         24
        .size:           8
        .value_kind:     by_value
      - .actual_access:  read_only
        .address_space:  global
        .offset:         32
        .size:           8
        .value_kind:     global_buffer
      - .offset:         40
        .size:           40
        .value_kind:     by_value
      - .offset:         80
        .size:           40
        .value_kind:     by_value
      - .offset:         120
        .size:           40
        .value_kind:     by_value
      - .offset:         160
        .size:           4
        .value_kind:     by_value
      - .offset:         164
        .size:           4
        .value_kind:     by_value
      - .offset:         168
        .size:           4
        .value_kind:     by_value
      - .offset:         172
        .size:           4
        .value_kind:     by_value
      - .offset:         176
        .size:           4
        .value_kind:     by_value
      - .offset:         180
        .size:           4
        .value_kind:     by_value
      - .offset:         184
        .size:           4
        .value_kind:     by_value
      - .offset:         188
        .size:           4
        .value_kind:     by_value
      - .offset:         192
        .size:           4
        .value_kind:     by_value
      - .offset:         196
        .size:           4
        .value_kind:     by_value
      - .offset:         200
        .size:           4
        .value_kind:     by_value
      - .offset:         204
        .size:           4
        .value_kind:     by_value
      - .offset:         208
        .size:           4
        .value_kind:     by_value
      - .offset:         212
        .size:           4
        .value_kind:     by_value
      - .offset:         216
        .size:           4
        .value_kind:     by_value
      - .offset:         220
        .size:           4
        .value_kind:     by_value
      - .offset:         224
        .size:           4
        .value_kind:     hidden_block_count_x
      - .offset:         228
        .size:           4
        .value_kind:     hidden_block_count_y
      - .offset:         232
        .size:           4
        .value_kind:     hidden_block_count_z
      - .offset:         236
        .size:           2
        .value_kind:     hidden_group_size_x
      - .offset:         238
        .size:           2
        .value_kind:     hidden_group_size_y
      - .offset:         240
        .size:           2
        .value_kind:     hidden_group_size_z
      - .offset:         242
        .size:           2
        .value_kind:     hidden_remainder_x
      - .offset:         244
        .size:           2
        .value_kind:     hidden_remainder_y
      - .offset:         246
        .size:           2
        .value_kind:     hidden_remainder_z
      - .offset:         264
        .size:           8
        .value_kind:     hidden_global_offset_x
      - .offset:         272
        .size:           8
        .value_kind:     hidden_global_offset_y
      - .offset:         280
        .size:           8
        .value_kind:     hidden_global_offset_z
      - .offset:         288
        .size:           2
        .value_kind:     hidden_grid_dims
    .group_segment_fixed_size: 0
    .kernarg_segment_align: 8
    .kernarg_segment_size: 480
    .language:       OpenCL C
    .language_version:
      - 2
      - 0
    .max_flat_workgroup_size: 1024
    .name:           naive_conv_ab_packed_wrw_nhwc_half_double_half
    .private_segment_fixed_size: 0
    .sgpr_count:     71
    .sgpr_spill_count: 0
    .symbol:         naive_conv_ab_packed_wrw_nhwc_half_double_half.kd
    .uniform_work_group_size: 1
    .uses_dynamic_stack: false
    .vgpr_count:     20
    .vgpr_spill_count: 0
    .wavefront_size: 32
  - .args:
      - .actual_access:  read_only
        .address_space:  global
        .offset:         0
        .size:           8
        .value_kind:     global_buffer
      - .address_space:  global
        .offset:         8
        .size:           8
        .value_kind:     global_buffer
      - .offset:         16
        .size:           8
        .value_kind:     by_value
      - .offset:         24
        .size:           8
        .value_kind:     by_value
      - .actual_access:  read_only
        .address_space:  global
        .offset:         32
        .size:           8
        .value_kind:     global_buffer
      - .offset:         40
        .size:           40
        .value_kind:     by_value
      - .offset:         80
        .size:           40
        .value_kind:     by_value
      - .offset:         120
        .size:           40
        .value_kind:     by_value
      - .offset:         160
        .size:           4
        .value_kind:     by_value
      - .offset:         164
        .size:           4
        .value_kind:     by_value
      - .offset:         168
        .size:           4
        .value_kind:     by_value
      - .offset:         172
        .size:           4
        .value_kind:     by_value
      - .offset:         176
        .size:           4
        .value_kind:     by_value
      - .offset:         180
        .size:           4
        .value_kind:     by_value
      - .offset:         184
        .size:           4
        .value_kind:     by_value
      - .offset:         188
        .size:           4
        .value_kind:     by_value
      - .offset:         192
        .size:           4
        .value_kind:     by_value
      - .offset:         196
        .size:           4
        .value_kind:     by_value
      - .offset:         200
        .size:           4
        .value_kind:     by_value
      - .offset:         204
        .size:           4
        .value_kind:     by_value
      - .offset:         208
        .size:           4
        .value_kind:     by_value
      - .offset:         212
        .size:           4
        .value_kind:     by_value
      - .offset:         216
        .size:           4
        .value_kind:     by_value
      - .offset:         220
        .size:           4
        .value_kind:     by_value
      - .offset:         224
        .size:           4
        .value_kind:     hidden_block_count_x
      - .offset:         228
        .size:           4
        .value_kind:     hidden_block_count_y
      - .offset:         232
        .size:           4
        .value_kind:     hidden_block_count_z
      - .offset:         236
        .size:           2
        .value_kind:     hidden_group_size_x
      - .offset:         238
        .size:           2
        .value_kind:     hidden_group_size_y
      - .offset:         240
        .size:           2
        .value_kind:     hidden_group_size_z
      - .offset:         242
        .size:           2
        .value_kind:     hidden_remainder_x
      - .offset:         244
        .size:           2
        .value_kind:     hidden_remainder_y
      - .offset:         246
        .size:           2
        .value_kind:     hidden_remainder_z
      - .offset:         264
        .size:           8
        .value_kind:     hidden_global_offset_x
      - .offset:         272
        .size:           8
        .value_kind:     hidden_global_offset_y
      - .offset:         280
        .size:           8
        .value_kind:     hidden_global_offset_z
      - .offset:         288
        .size:           2
        .value_kind:     hidden_grid_dims
    .group_segment_fixed_size: 0
    .kernarg_segment_align: 8
    .kernarg_segment_size: 480
    .language:       OpenCL C
    .language_version:
      - 2
      - 0
    .max_flat_workgroup_size: 1024
    .name:           naive_conv_ab_nonpacked_wrw_nhwc_half_double_half
    .private_segment_fixed_size: 0
    .sgpr_count:     76
    .sgpr_spill_count: 0
    .symbol:         naive_conv_ab_nonpacked_wrw_nhwc_half_double_half.kd
    .uniform_work_group_size: 1
    .uses_dynamic_stack: false
    .vgpr_count:     22
    .vgpr_spill_count: 0
    .wavefront_size: 32
  - .args:
      - .actual_access:  read_only
        .address_space:  global
        .offset:         0
        .size:           8
        .value_kind:     global_buffer
      - .address_space:  global
        .offset:         8
        .size:           8
        .value_kind:     global_buffer
      - .offset:         16
        .size:           8
        .value_kind:     by_value
      - .offset:         24
        .size:           8
        .value_kind:     by_value
      - .actual_access:  read_only
        .address_space:  global
        .offset:         32
        .size:           8
        .value_kind:     global_buffer
      - .offset:         40
        .size:           40
        .value_kind:     by_value
      - .offset:         80
        .size:           40
        .value_kind:     by_value
      - .offset:         120
        .size:           40
        .value_kind:     by_value
      - .offset:         160
        .size:           4
        .value_kind:     by_value
      - .offset:         164
        .size:           4
        .value_kind:     by_value
      - .offset:         168
        .size:           4
        .value_kind:     by_value
      - .offset:         172
        .size:           4
        .value_kind:     by_value
      - .offset:         176
        .size:           4
        .value_kind:     by_value
      - .offset:         180
        .size:           4
        .value_kind:     by_value
      - .offset:         184
        .size:           4
        .value_kind:     by_value
      - .offset:         188
        .size:           4
        .value_kind:     by_value
      - .offset:         192
        .size:           4
        .value_kind:     by_value
      - .offset:         196
        .size:           4
        .value_kind:     by_value
      - .offset:         200
        .size:           4
        .value_kind:     by_value
      - .offset:         204
        .size:           4
        .value_kind:     by_value
      - .offset:         208
        .size:           4
        .value_kind:     by_value
      - .offset:         212
        .size:           4
        .value_kind:     by_value
      - .offset:         216
        .size:           4
        .value_kind:     by_value
      - .offset:         220
        .size:           4
        .value_kind:     by_value
      - .offset:         224
        .size:           4
        .value_kind:     hidden_block_count_x
      - .offset:         228
        .size:           4
        .value_kind:     hidden_block_count_y
      - .offset:         232
        .size:           4
        .value_kind:     hidden_block_count_z
      - .offset:         236
        .size:           2
        .value_kind:     hidden_group_size_x
      - .offset:         238
        .size:           2
        .value_kind:     hidden_group_size_y
      - .offset:         240
        .size:           2
        .value_kind:     hidden_group_size_z
      - .offset:         242
        .size:           2
        .value_kind:     hidden_remainder_x
      - .offset:         244
        .size:           2
        .value_kind:     hidden_remainder_y
      - .offset:         246
        .size:           2
        .value_kind:     hidden_remainder_z
      - .offset:         264
        .size:           8
        .value_kind:     hidden_global_offset_x
      - .offset:         272
        .size:           8
        .value_kind:     hidden_global_offset_y
      - .offset:         280
        .size:           8
        .value_kind:     hidden_global_offset_z
      - .offset:         288
        .size:           2
        .value_kind:     hidden_grid_dims
    .group_segment_fixed_size: 0
    .kernarg_segment_align: 8
    .kernarg_segment_size: 480
    .language:       OpenCL C
    .language_version:
      - 2
      - 0
    .max_flat_workgroup_size: 1024
    .name:           naive_conv_ab_packed_wrw_nhwc_ushort_double_ushort
    .private_segment_fixed_size: 0
    .sgpr_count:     71
    .sgpr_spill_count: 0
    .symbol:         naive_conv_ab_packed_wrw_nhwc_ushort_double_ushort.kd
    .uniform_work_group_size: 1
    .uses_dynamic_stack: false
    .vgpr_count:     20
    .vgpr_spill_count: 0
    .wavefront_size: 32
  - .args:
      - .actual_access:  read_only
        .address_space:  global
        .offset:         0
        .size:           8
        .value_kind:     global_buffer
      - .address_space:  global
        .offset:         8
        .size:           8
        .value_kind:     global_buffer
      - .offset:         16
        .size:           8
        .value_kind:     by_value
      - .offset:         24
        .size:           8
        .value_kind:     by_value
      - .actual_access:  read_only
        .address_space:  global
        .offset:         32
        .size:           8
        .value_kind:     global_buffer
      - .offset:         40
        .size:           40
        .value_kind:     by_value
      - .offset:         80
        .size:           40
        .value_kind:     by_value
      - .offset:         120
        .size:           40
        .value_kind:     by_value
      - .offset:         160
        .size:           4
        .value_kind:     by_value
      - .offset:         164
        .size:           4
        .value_kind:     by_value
      - .offset:         168
        .size:           4
        .value_kind:     by_value
      - .offset:         172
        .size:           4
        .value_kind:     by_value
      - .offset:         176
        .size:           4
        .value_kind:     by_value
      - .offset:         180
        .size:           4
        .value_kind:     by_value
      - .offset:         184
        .size:           4
        .value_kind:     by_value
      - .offset:         188
        .size:           4
        .value_kind:     by_value
      - .offset:         192
        .size:           4
        .value_kind:     by_value
      - .offset:         196
        .size:           4
        .value_kind:     by_value
      - .offset:         200
        .size:           4
        .value_kind:     by_value
      - .offset:         204
        .size:           4
        .value_kind:     by_value
      - .offset:         208
        .size:           4
        .value_kind:     by_value
      - .offset:         212
        .size:           4
        .value_kind:     by_value
      - .offset:         216
        .size:           4
        .value_kind:     by_value
      - .offset:         220
        .size:           4
        .value_kind:     by_value
      - .offset:         224
        .size:           4
        .value_kind:     hidden_block_count_x
      - .offset:         228
        .size:           4
        .value_kind:     hidden_block_count_y
      - .offset:         232
        .size:           4
        .value_kind:     hidden_block_count_z
      - .offset:         236
        .size:           2
        .value_kind:     hidden_group_size_x
      - .offset:         238
        .size:           2
        .value_kind:     hidden_group_size_y
      - .offset:         240
        .size:           2
        .value_kind:     hidden_group_size_z
      - .offset:         242
        .size:           2
        .value_kind:     hidden_remainder_x
      - .offset:         244
        .size:           2
        .value_kind:     hidden_remainder_y
      - .offset:         246
        .size:           2
        .value_kind:     hidden_remainder_z
      - .offset:         264
        .size:           8
        .value_kind:     hidden_global_offset_x
      - .offset:         272
        .size:           8
        .value_kind:     hidden_global_offset_y
      - .offset:         280
        .size:           8
        .value_kind:     hidden_global_offset_z
      - .offset:         288
        .size:           2
        .value_kind:     hidden_grid_dims
    .group_segment_fixed_size: 0
    .kernarg_segment_align: 8
    .kernarg_segment_size: 480
    .language:       OpenCL C
    .language_version:
      - 2
      - 0
    .max_flat_workgroup_size: 1024
    .name:           naive_conv_ab_nonpacked_wrw_nhwc_ushort_double_ushort
    .private_segment_fixed_size: 0
    .sgpr_count:     76
    .sgpr_spill_count: 0
    .symbol:         naive_conv_ab_nonpacked_wrw_nhwc_ushort_double_ushort.kd
    .uniform_work_group_size: 1
    .uses_dynamic_stack: false
    .vgpr_count:     22
    .vgpr_spill_count: 0
    .wavefront_size: 32
  - .args:
      - .actual_access:  read_only
        .address_space:  global
        .offset:         0
        .size:           8
        .value_kind:     global_buffer
      - .actual_access:  read_only
        .address_space:  global
        .offset:         8
        .size:           8
        .value_kind:     global_buffer
      - .offset:         16
        .size:           8
        .value_kind:     by_value
      - .offset:         24
        .size:           8
        .value_kind:     by_value
      - .address_space:  global
        .offset:         32
        .size:           8
        .value_kind:     global_buffer
      - .offset:         40
        .size:           48
        .value_kind:     by_value
      - .offset:         88
        .size:           48
        .value_kind:     by_value
      - .offset:         136
        .size:           48
        .value_kind:     by_value
      - .offset:         184
        .size:           4
        .value_kind:     by_value
      - .offset:         188
        .size:           4
        .value_kind:     by_value
      - .offset:         192
        .size:           4
        .value_kind:     by_value
      - .offset:         196
        .size:           4
        .value_kind:     by_value
      - .offset:         200
        .size:           4
        .value_kind:     by_value
      - .offset:         204
        .size:           4
        .value_kind:     by_value
      - .offset:         208
        .size:           4
        .value_kind:     by_value
      - .offset:         212
        .size:           4
        .value_kind:     by_value
      - .offset:         216
        .size:           4
        .value_kind:     by_value
      - .offset:         220
        .size:           4
        .value_kind:     by_value
      - .offset:         224
        .size:           4
        .value_kind:     by_value
      - .offset:         228
        .size:           4
        .value_kind:     by_value
      - .offset:         232
        .size:           4
        .value_kind:     by_value
      - .offset:         236
        .size:           4
        .value_kind:     by_value
      - .offset:         240
        .size:           4
        .value_kind:     by_value
      - .offset:         244
        .size:           4
        .value_kind:     by_value
      - .offset:         248
        .size:           4
        .value_kind:     by_value
      - .offset:         252
        .size:           4
        .value_kind:     by_value
      - .offset:         256
        .size:           4
        .value_kind:     by_value
      - .offset:         260
        .size:           4
        .value_kind:     by_value
      - .offset:         264
        .size:           4
        .value_kind:     by_value
      - .offset:         268
        .size:           4
        .value_kind:     by_value
      - .offset:         272
        .size:           4
        .value_kind:     hidden_block_count_x
      - .offset:         276
        .size:           4
        .value_kind:     hidden_block_count_y
      - .offset:         280
        .size:           4
        .value_kind:     hidden_block_count_z
      - .offset:         284
        .size:           2
        .value_kind:     hidden_group_size_x
      - .offset:         286
        .size:           2
        .value_kind:     hidden_group_size_y
      - .offset:         288
        .size:           2
        .value_kind:     hidden_group_size_z
      - .offset:         290
        .size:           2
        .value_kind:     hidden_remainder_x
      - .offset:         292
        .size:           2
        .value_kind:     hidden_remainder_y
      - .offset:         294
        .size:           2
        .value_kind:     hidden_remainder_z
      - .offset:         312
        .size:           8
        .value_kind:     hidden_global_offset_x
      - .offset:         320
        .size:           8
        .value_kind:     hidden_global_offset_y
      - .offset:         328
        .size:           8
        .value_kind:     hidden_global_offset_z
      - .offset:         336
        .size:           2
        .value_kind:     hidden_grid_dims
    .group_segment_fixed_size: 0
    .kernarg_segment_align: 8
    .kernarg_segment_size: 528
    .language:       OpenCL C
    .language_version:
      - 2
      - 0
    .max_flat_workgroup_size: 1024
    .name:           naive_conv_ab_packed_fwd_ncdhw_float_double_float
    .private_segment_fixed_size: 0
    .sgpr_count:     78
    .sgpr_spill_count: 0
    .symbol:         naive_conv_ab_packed_fwd_ncdhw_float_double_float.kd
    .uniform_work_group_size: 1
    .uses_dynamic_stack: false
    .vgpr_count:     20
    .vgpr_spill_count: 0
    .wavefront_size: 32
  - .args:
      - .actual_access:  read_only
        .address_space:  global
        .offset:         0
        .size:           8
        .value_kind:     global_buffer
      - .actual_access:  read_only
        .address_space:  global
        .offset:         8
        .size:           8
        .value_kind:     global_buffer
      - .offset:         16
        .size:           8
        .value_kind:     by_value
      - .offset:         24
        .size:           8
        .value_kind:     by_value
      - .address_space:  global
        .offset:         32
        .size:           8
        .value_kind:     global_buffer
      - .offset:         40
        .size:           48
        .value_kind:     by_value
      - .offset:         88
        .size:           48
        .value_kind:     by_value
      - .offset:         136
        .size:           48
        .value_kind:     by_value
      - .offset:         184
        .size:           4
        .value_kind:     by_value
      - .offset:         188
        .size:           4
        .value_kind:     by_value
      - .offset:         192
        .size:           4
        .value_kind:     by_value
      - .offset:         196
        .size:           4
        .value_kind:     by_value
      - .offset:         200
        .size:           4
        .value_kind:     by_value
      - .offset:         204
        .size:           4
        .value_kind:     by_value
      - .offset:         208
        .size:           4
        .value_kind:     by_value
      - .offset:         212
        .size:           4
        .value_kind:     by_value
      - .offset:         216
        .size:           4
        .value_kind:     by_value
      - .offset:         220
        .size:           4
        .value_kind:     by_value
      - .offset:         224
        .size:           4
        .value_kind:     by_value
      - .offset:         228
        .size:           4
        .value_kind:     by_value
      - .offset:         232
        .size:           4
        .value_kind:     by_value
      - .offset:         236
        .size:           4
        .value_kind:     by_value
      - .offset:         240
        .size:           4
        .value_kind:     by_value
      - .offset:         244
        .size:           4
        .value_kind:     by_value
      - .offset:         248
        .size:           4
        .value_kind:     by_value
      - .offset:         252
        .size:           4
        .value_kind:     by_value
      - .offset:         256
        .size:           4
        .value_kind:     by_value
      - .offset:         260
        .size:           4
        .value_kind:     by_value
      - .offset:         264
        .size:           4
        .value_kind:     by_value
      - .offset:         268
        .size:           4
        .value_kind:     by_value
      - .offset:         272
        .size:           4
        .value_kind:     hidden_block_count_x
      - .offset:         276
        .size:           4
        .value_kind:     hidden_block_count_y
      - .offset:         280
        .size:           4
        .value_kind:     hidden_block_count_z
      - .offset:         284
        .size:           2
        .value_kind:     hidden_group_size_x
      - .offset:         286
        .size:           2
        .value_kind:     hidden_group_size_y
      - .offset:         288
        .size:           2
        .value_kind:     hidden_group_size_z
      - .offset:         290
        .size:           2
        .value_kind:     hidden_remainder_x
      - .offset:         292
        .size:           2
        .value_kind:     hidden_remainder_y
      - .offset:         294
        .size:           2
        .value_kind:     hidden_remainder_z
      - .offset:         312
        .size:           8
        .value_kind:     hidden_global_offset_x
      - .offset:         320
        .size:           8
        .value_kind:     hidden_global_offset_y
      - .offset:         328
        .size:           8
        .value_kind:     hidden_global_offset_z
      - .offset:         336
        .size:           2
        .value_kind:     hidden_grid_dims
    .group_segment_fixed_size: 0
    .kernarg_segment_align: 8
    .kernarg_segment_size: 528
    .language:       OpenCL C
    .language_version:
      - 2
      - 0
    .max_flat_workgroup_size: 1024
    .name:           naive_conv_ab_nonpacked_fwd_ncdhw_float_double_float
    .private_segment_fixed_size: 0
    .sgpr_count:     90
    .sgpr_spill_count: 0
    .symbol:         naive_conv_ab_nonpacked_fwd_ncdhw_float_double_float.kd
    .uniform_work_group_size: 1
    .uses_dynamic_stack: false
    .vgpr_count:     20
    .vgpr_spill_count: 0
    .wavefront_size: 32
  - .args:
      - .actual_access:  read_only
        .address_space:  global
        .offset:         0
        .size:           8
        .value_kind:     global_buffer
      - .actual_access:  read_only
        .address_space:  global
        .offset:         8
        .size:           8
        .value_kind:     global_buffer
      - .offset:         16
        .size:           8
        .value_kind:     by_value
      - .offset:         24
        .size:           8
        .value_kind:     by_value
      - .address_space:  global
        .offset:         32
        .size:           8
        .value_kind:     global_buffer
      - .offset:         40
        .size:           48
        .value_kind:     by_value
      - .offset:         88
        .size:           48
        .value_kind:     by_value
      - .offset:         136
        .size:           48
        .value_kind:     by_value
      - .offset:         184
        .size:           4
        .value_kind:     by_value
      - .offset:         188
        .size:           4
        .value_kind:     by_value
      - .offset:         192
        .size:           4
        .value_kind:     by_value
      - .offset:         196
        .size:           4
        .value_kind:     by_value
      - .offset:         200
        .size:           4
        .value_kind:     by_value
      - .offset:         204
        .size:           4
        .value_kind:     by_value
      - .offset:         208
        .size:           4
        .value_kind:     by_value
      - .offset:         212
        .size:           4
        .value_kind:     by_value
      - .offset:         216
        .size:           4
        .value_kind:     by_value
      - .offset:         220
        .size:           4
        .value_kind:     by_value
      - .offset:         224
        .size:           4
        .value_kind:     by_value
      - .offset:         228
        .size:           4
        .value_kind:     by_value
      - .offset:         232
        .size:           4
        .value_kind:     by_value
      - .offset:         236
        .size:           4
        .value_kind:     by_value
      - .offset:         240
        .size:           4
        .value_kind:     by_value
      - .offset:         244
        .size:           4
        .value_kind:     by_value
      - .offset:         248
        .size:           4
        .value_kind:     by_value
      - .offset:         252
        .size:           4
        .value_kind:     by_value
      - .offset:         256
        .size:           4
        .value_kind:     by_value
      - .offset:         260
        .size:           4
        .value_kind:     by_value
      - .offset:         264
        .size:           4
        .value_kind:     by_value
      - .offset:         268
        .size:           4
        .value_kind:     by_value
      - .offset:         272
        .size:           4
        .value_kind:     hidden_block_count_x
      - .offset:         276
        .size:           4
        .value_kind:     hidden_block_count_y
      - .offset:         280
        .size:           4
        .value_kind:     hidden_block_count_z
      - .offset:         284
        .size:           2
        .value_kind:     hidden_group_size_x
      - .offset:         286
        .size:           2
        .value_kind:     hidden_group_size_y
      - .offset:         288
        .size:           2
        .value_kind:     hidden_group_size_z
      - .offset:         290
        .size:           2
        .value_kind:     hidden_remainder_x
      - .offset:         292
        .size:           2
        .value_kind:     hidden_remainder_y
      - .offset:         294
        .size:           2
        .value_kind:     hidden_remainder_z
      - .offset:         312
        .size:           8
        .value_kind:     hidden_global_offset_x
      - .offset:         320
        .size:           8
        .value_kind:     hidden_global_offset_y
      - .offset:         328
        .size:           8
        .value_kind:     hidden_global_offset_z
      - .offset:         336
        .size:           2
        .value_kind:     hidden_grid_dims
    .group_segment_fixed_size: 0
    .kernarg_segment_align: 8
    .kernarg_segment_size: 528
    .language:       OpenCL C
    .language_version:
      - 2
      - 0
    .max_flat_workgroup_size: 1024
    .name:           naive_conv_ab_packed_fwd_ncdhw_half_double_half
    .private_segment_fixed_size: 0
    .sgpr_count:     78
    .sgpr_spill_count: 0
    .symbol:         naive_conv_ab_packed_fwd_ncdhw_half_double_half.kd
    .uniform_work_group_size: 1
    .uses_dynamic_stack: false
    .vgpr_count:     20
    .vgpr_spill_count: 0
    .wavefront_size: 32
  - .args:
      - .actual_access:  read_only
        .address_space:  global
        .offset:         0
        .size:           8
        .value_kind:     global_buffer
      - .actual_access:  read_only
        .address_space:  global
        .offset:         8
        .size:           8
        .value_kind:     global_buffer
      - .offset:         16
        .size:           8
        .value_kind:     by_value
      - .offset:         24
        .size:           8
        .value_kind:     by_value
      - .address_space:  global
        .offset:         32
        .size:           8
        .value_kind:     global_buffer
      - .offset:         40
        .size:           48
        .value_kind:     by_value
      - .offset:         88
        .size:           48
        .value_kind:     by_value
      - .offset:         136
        .size:           48
        .value_kind:     by_value
      - .offset:         184
        .size:           4
        .value_kind:     by_value
      - .offset:         188
        .size:           4
        .value_kind:     by_value
      - .offset:         192
        .size:           4
        .value_kind:     by_value
      - .offset:         196
        .size:           4
        .value_kind:     by_value
      - .offset:         200
        .size:           4
        .value_kind:     by_value
      - .offset:         204
        .size:           4
        .value_kind:     by_value
      - .offset:         208
        .size:           4
        .value_kind:     by_value
      - .offset:         212
        .size:           4
        .value_kind:     by_value
      - .offset:         216
        .size:           4
        .value_kind:     by_value
      - .offset:         220
        .size:           4
        .value_kind:     by_value
      - .offset:         224
        .size:           4
        .value_kind:     by_value
      - .offset:         228
        .size:           4
        .value_kind:     by_value
      - .offset:         232
        .size:           4
        .value_kind:     by_value
      - .offset:         236
        .size:           4
        .value_kind:     by_value
      - .offset:         240
        .size:           4
        .value_kind:     by_value
      - .offset:         244
        .size:           4
        .value_kind:     by_value
      - .offset:         248
        .size:           4
        .value_kind:     by_value
      - .offset:         252
        .size:           4
        .value_kind:     by_value
      - .offset:         256
        .size:           4
        .value_kind:     by_value
      - .offset:         260
        .size:           4
        .value_kind:     by_value
      - .offset:         264
        .size:           4
        .value_kind:     by_value
      - .offset:         268
        .size:           4
        .value_kind:     by_value
      - .offset:         272
        .size:           4
        .value_kind:     hidden_block_count_x
      - .offset:         276
        .size:           4
        .value_kind:     hidden_block_count_y
      - .offset:         280
        .size:           4
        .value_kind:     hidden_block_count_z
      - .offset:         284
        .size:           2
        .value_kind:     hidden_group_size_x
      - .offset:         286
        .size:           2
        .value_kind:     hidden_group_size_y
      - .offset:         288
        .size:           2
        .value_kind:     hidden_group_size_z
      - .offset:         290
        .size:           2
        .value_kind:     hidden_remainder_x
      - .offset:         292
        .size:           2
        .value_kind:     hidden_remainder_y
      - .offset:         294
        .size:           2
        .value_kind:     hidden_remainder_z
      - .offset:         312
        .size:           8
        .value_kind:     hidden_global_offset_x
      - .offset:         320
        .size:           8
        .value_kind:     hidden_global_offset_y
      - .offset:         328
        .size:           8
        .value_kind:     hidden_global_offset_z
      - .offset:         336
        .size:           2
        .value_kind:     hidden_grid_dims
    .group_segment_fixed_size: 0
    .kernarg_segment_align: 8
    .kernarg_segment_size: 528
    .language:       OpenCL C
    .language_version:
      - 2
      - 0
    .max_flat_workgroup_size: 1024
    .name:           naive_conv_ab_nonpacked_fwd_ncdhw_half_double_half
    .private_segment_fixed_size: 0
    .sgpr_count:     90
    .sgpr_spill_count: 0
    .symbol:         naive_conv_ab_nonpacked_fwd_ncdhw_half_double_half.kd
    .uniform_work_group_size: 1
    .uses_dynamic_stack: false
    .vgpr_count:     20
    .vgpr_spill_count: 0
    .wavefront_size: 32
  - .args:
      - .actual_access:  read_only
        .address_space:  global
        .offset:         0
        .size:           8
        .value_kind:     global_buffer
      - .actual_access:  read_only
        .address_space:  global
        .offset:         8
        .size:           8
        .value_kind:     global_buffer
      - .offset:         16
        .size:           8
        .value_kind:     by_value
      - .offset:         24
        .size:           8
        .value_kind:     by_value
      - .address_space:  global
        .offset:         32
        .size:           8
        .value_kind:     global_buffer
      - .offset:         40
        .size:           48
        .value_kind:     by_value
      - .offset:         88
        .size:           48
        .value_kind:     by_value
      - .offset:         136
        .size:           48
        .value_kind:     by_value
      - .offset:         184
        .size:           4
        .value_kind:     by_value
      - .offset:         188
        .size:           4
        .value_kind:     by_value
      - .offset:         192
        .size:           4
        .value_kind:     by_value
      - .offset:         196
        .size:           4
        .value_kind:     by_value
      - .offset:         200
        .size:           4
        .value_kind:     by_value
      - .offset:         204
        .size:           4
        .value_kind:     by_value
      - .offset:         208
        .size:           4
        .value_kind:     by_value
      - .offset:         212
        .size:           4
        .value_kind:     by_value
      - .offset:         216
        .size:           4
        .value_kind:     by_value
      - .offset:         220
        .size:           4
        .value_kind:     by_value
      - .offset:         224
        .size:           4
        .value_kind:     by_value
      - .offset:         228
        .size:           4
        .value_kind:     by_value
      - .offset:         232
        .size:           4
        .value_kind:     by_value
      - .offset:         236
        .size:           4
        .value_kind:     by_value
      - .offset:         240
        .size:           4
        .value_kind:     by_value
      - .offset:         244
        .size:           4
        .value_kind:     by_value
      - .offset:         248
        .size:           4
        .value_kind:     by_value
      - .offset:         252
        .size:           4
        .value_kind:     by_value
      - .offset:         256
        .size:           4
        .value_kind:     by_value
      - .offset:         260
        .size:           4
        .value_kind:     by_value
      - .offset:         264
        .size:           4
        .value_kind:     by_value
      - .offset:         268
        .size:           4
        .value_kind:     by_value
      - .offset:         272
        .size:           4
        .value_kind:     hidden_block_count_x
      - .offset:         276
        .size:           4
        .value_kind:     hidden_block_count_y
      - .offset:         280
        .size:           4
        .value_kind:     hidden_block_count_z
      - .offset:         284
        .size:           2
        .value_kind:     hidden_group_size_x
      - .offset:         286
        .size:           2
        .value_kind:     hidden_group_size_y
      - .offset:         288
        .size:           2
        .value_kind:     hidden_group_size_z
      - .offset:         290
        .size:           2
        .value_kind:     hidden_remainder_x
      - .offset:         292
        .size:           2
        .value_kind:     hidden_remainder_y
      - .offset:         294
        .size:           2
        .value_kind:     hidden_remainder_z
      - .offset:         312
        .size:           8
        .value_kind:     hidden_global_offset_x
      - .offset:         320
        .size:           8
        .value_kind:     hidden_global_offset_y
      - .offset:         328
        .size:           8
        .value_kind:     hidden_global_offset_z
      - .offset:         336
        .size:           2
        .value_kind:     hidden_grid_dims
    .group_segment_fixed_size: 0
    .kernarg_segment_align: 8
    .kernarg_segment_size: 528
    .language:       OpenCL C
    .language_version:
      - 2
      - 0
    .max_flat_workgroup_size: 1024
    .name:           naive_conv_ab_packed_fwd_ncdhw_ushort_double_ushort
    .private_segment_fixed_size: 0
    .sgpr_count:     78
    .sgpr_spill_count: 0
    .symbol:         naive_conv_ab_packed_fwd_ncdhw_ushort_double_ushort.kd
    .uniform_work_group_size: 1
    .uses_dynamic_stack: false
    .vgpr_count:     20
    .vgpr_spill_count: 0
    .wavefront_size: 32
  - .args:
      - .actual_access:  read_only
        .address_space:  global
        .offset:         0
        .size:           8
        .value_kind:     global_buffer
      - .actual_access:  read_only
        .address_space:  global
        .offset:         8
        .size:           8
        .value_kind:     global_buffer
      - .offset:         16
        .size:           8
        .value_kind:     by_value
      - .offset:         24
        .size:           8
        .value_kind:     by_value
      - .address_space:  global
        .offset:         32
        .size:           8
        .value_kind:     global_buffer
      - .offset:         40
        .size:           48
        .value_kind:     by_value
      - .offset:         88
        .size:           48
        .value_kind:     by_value
      - .offset:         136
        .size:           48
        .value_kind:     by_value
      - .offset:         184
        .size:           4
        .value_kind:     by_value
      - .offset:         188
        .size:           4
        .value_kind:     by_value
      - .offset:         192
        .size:           4
        .value_kind:     by_value
      - .offset:         196
        .size:           4
        .value_kind:     by_value
      - .offset:         200
        .size:           4
        .value_kind:     by_value
      - .offset:         204
        .size:           4
        .value_kind:     by_value
      - .offset:         208
        .size:           4
        .value_kind:     by_value
      - .offset:         212
        .size:           4
        .value_kind:     by_value
      - .offset:         216
        .size:           4
        .value_kind:     by_value
      - .offset:         220
        .size:           4
        .value_kind:     by_value
      - .offset:         224
        .size:           4
        .value_kind:     by_value
      - .offset:         228
        .size:           4
        .value_kind:     by_value
      - .offset:         232
        .size:           4
        .value_kind:     by_value
      - .offset:         236
        .size:           4
        .value_kind:     by_value
      - .offset:         240
        .size:           4
        .value_kind:     by_value
      - .offset:         244
        .size:           4
        .value_kind:     by_value
      - .offset:         248
        .size:           4
        .value_kind:     by_value
      - .offset:         252
        .size:           4
        .value_kind:     by_value
      - .offset:         256
        .size:           4
        .value_kind:     by_value
      - .offset:         260
        .size:           4
        .value_kind:     by_value
      - .offset:         264
        .size:           4
        .value_kind:     by_value
      - .offset:         268
        .size:           4
        .value_kind:     by_value
      - .offset:         272
        .size:           4
        .value_kind:     hidden_block_count_x
      - .offset:         276
        .size:           4
        .value_kind:     hidden_block_count_y
      - .offset:         280
        .size:           4
        .value_kind:     hidden_block_count_z
      - .offset:         284
        .size:           2
        .value_kind:     hidden_group_size_x
      - .offset:         286
        .size:           2
        .value_kind:     hidden_group_size_y
      - .offset:         288
        .size:           2
        .value_kind:     hidden_group_size_z
      - .offset:         290
        .size:           2
        .value_kind:     hidden_remainder_x
      - .offset:         292
        .size:           2
        .value_kind:     hidden_remainder_y
      - .offset:         294
        .size:           2
        .value_kind:     hidden_remainder_z
      - .offset:         312
        .size:           8
        .value_kind:     hidden_global_offset_x
      - .offset:         320
        .size:           8
        .value_kind:     hidden_global_offset_y
      - .offset:         328
        .size:           8
        .value_kind:     hidden_global_offset_z
      - .offset:         336
        .size:           2
        .value_kind:     hidden_grid_dims
    .group_segment_fixed_size: 0
    .kernarg_segment_align: 8
    .kernarg_segment_size: 528
    .language:       OpenCL C
    .language_version:
      - 2
      - 0
    .max_flat_workgroup_size: 1024
    .name:           naive_conv_ab_nonpacked_fwd_ncdhw_ushort_double_ushort
    .private_segment_fixed_size: 0
    .sgpr_count:     90
    .sgpr_spill_count: 0
    .symbol:         naive_conv_ab_nonpacked_fwd_ncdhw_ushort_double_ushort.kd
    .uniform_work_group_size: 1
    .uses_dynamic_stack: false
    .vgpr_count:     20
    .vgpr_spill_count: 0
    .wavefront_size: 32
  - .args:
      - .actual_access:  read_only
        .address_space:  global
        .offset:         0
        .size:           8
        .value_kind:     global_buffer
      - .actual_access:  read_only
        .address_space:  global
        .offset:         8
        .size:           8
        .value_kind:     global_buffer
      - .offset:         16
        .size:           8
        .value_kind:     by_value
      - .offset:         24
        .size:           8
        .value_kind:     by_value
      - .address_space:  global
        .offset:         32
        .size:           8
        .value_kind:     global_buffer
      - .offset:         40
        .size:           48
        .value_kind:     by_value
      - .offset:         88
        .size:           48
        .value_kind:     by_value
      - .offset:         136
        .size:           48
        .value_kind:     by_value
      - .offset:         184
        .size:           4
        .value_kind:     by_value
      - .offset:         188
        .size:           4
        .value_kind:     by_value
      - .offset:         192
        .size:           4
        .value_kind:     by_value
      - .offset:         196
        .size:           4
        .value_kind:     by_value
      - .offset:         200
        .size:           4
        .value_kind:     by_value
      - .offset:         204
        .size:           4
        .value_kind:     by_value
      - .offset:         208
        .size:           4
        .value_kind:     by_value
      - .offset:         212
        .size:           4
        .value_kind:     by_value
      - .offset:         216
        .size:           4
        .value_kind:     by_value
      - .offset:         220
        .size:           4
        .value_kind:     by_value
      - .offset:         224
        .size:           4
        .value_kind:     by_value
      - .offset:         228
        .size:           4
        .value_kind:     by_value
      - .offset:         232
        .size:           4
        .value_kind:     by_value
      - .offset:         236
        .size:           4
        .value_kind:     by_value
      - .offset:         240
        .size:           4
        .value_kind:     by_value
      - .offset:         244
        .size:           4
        .value_kind:     by_value
      - .offset:         248
        .size:           4
        .value_kind:     by_value
      - .offset:         252
        .size:           4
        .value_kind:     by_value
      - .offset:         256
        .size:           4
        .value_kind:     by_value
      - .offset:         260
        .size:           4
        .value_kind:     by_value
      - .offset:         264
        .size:           4
        .value_kind:     by_value
      - .offset:         268
        .size:           4
        .value_kind:     by_value
      - .offset:         272
        .size:           4
        .value_kind:     hidden_block_count_x
      - .offset:         276
        .size:           4
        .value_kind:     hidden_block_count_y
      - .offset:         280
        .size:           4
        .value_kind:     hidden_block_count_z
      - .offset:         284
        .size:           2
        .value_kind:     hidden_group_size_x
      - .offset:         286
        .size:           2
        .value_kind:     hidden_group_size_y
      - .offset:         288
        .size:           2
        .value_kind:     hidden_group_size_z
      - .offset:         290
        .size:           2
        .value_kind:     hidden_remainder_x
      - .offset:         292
        .size:           2
        .value_kind:     hidden_remainder_y
      - .offset:         294
        .size:           2
        .value_kind:     hidden_remainder_z
      - .offset:         312
        .size:           8
        .value_kind:     hidden_global_offset_x
      - .offset:         320
        .size:           8
        .value_kind:     hidden_global_offset_y
      - .offset:         328
        .size:           8
        .value_kind:     hidden_global_offset_z
      - .offset:         336
        .size:           2
        .value_kind:     hidden_grid_dims
    .group_segment_fixed_size: 0
    .kernarg_segment_align: 8
    .kernarg_segment_size: 528
    .language:       OpenCL C
    .language_version:
      - 2
      - 0
    .max_flat_workgroup_size: 1024
    .name:           naive_conv_ab_packed_fwd_ncdhw_int8_t_int32_t_int32_t
    .private_segment_fixed_size: 0
    .sgpr_count:     73
    .sgpr_spill_count: 0
    .symbol:         naive_conv_ab_packed_fwd_ncdhw_int8_t_int32_t_int32_t.kd
    .uniform_work_group_size: 1
    .uses_dynamic_stack: false
    .vgpr_count:     18
    .vgpr_spill_count: 0
    .wavefront_size: 32
  - .args:
      - .actual_access:  read_only
        .address_space:  global
        .offset:         0
        .size:           8
        .value_kind:     global_buffer
      - .actual_access:  read_only
        .address_space:  global
        .offset:         8
        .size:           8
        .value_kind:     global_buffer
      - .offset:         16
        .size:           8
        .value_kind:     by_value
      - .offset:         24
        .size:           8
        .value_kind:     by_value
      - .address_space:  global
        .offset:         32
        .size:           8
        .value_kind:     global_buffer
      - .offset:         40
        .size:           48
        .value_kind:     by_value
      - .offset:         88
        .size:           48
        .value_kind:     by_value
      - .offset:         136
        .size:           48
        .value_kind:     by_value
      - .offset:         184
        .size:           4
        .value_kind:     by_value
      - .offset:         188
        .size:           4
        .value_kind:     by_value
      - .offset:         192
        .size:           4
        .value_kind:     by_value
      - .offset:         196
        .size:           4
        .value_kind:     by_value
      - .offset:         200
        .size:           4
        .value_kind:     by_value
      - .offset:         204
        .size:           4
        .value_kind:     by_value
      - .offset:         208
        .size:           4
        .value_kind:     by_value
      - .offset:         212
        .size:           4
        .value_kind:     by_value
      - .offset:         216
        .size:           4
        .value_kind:     by_value
      - .offset:         220
        .size:           4
        .value_kind:     by_value
      - .offset:         224
        .size:           4
        .value_kind:     by_value
      - .offset:         228
        .size:           4
        .value_kind:     by_value
      - .offset:         232
        .size:           4
        .value_kind:     by_value
      - .offset:         236
        .size:           4
        .value_kind:     by_value
      - .offset:         240
        .size:           4
        .value_kind:     by_value
      - .offset:         244
        .size:           4
        .value_kind:     by_value
      - .offset:         248
        .size:           4
        .value_kind:     by_value
      - .offset:         252
        .size:           4
        .value_kind:     by_value
      - .offset:         256
        .size:           4
        .value_kind:     by_value
      - .offset:         260
        .size:           4
        .value_kind:     by_value
      - .offset:         264
        .size:           4
        .value_kind:     by_value
      - .offset:         268
        .size:           4
        .value_kind:     by_value
      - .offset:         272
        .size:           4
        .value_kind:     hidden_block_count_x
      - .offset:         276
        .size:           4
        .value_kind:     hidden_block_count_y
      - .offset:         280
        .size:           4
        .value_kind:     hidden_block_count_z
      - .offset:         284
        .size:           2
        .value_kind:     hidden_group_size_x
      - .offset:         286
        .size:           2
        .value_kind:     hidden_group_size_y
      - .offset:         288
        .size:           2
        .value_kind:     hidden_group_size_z
      - .offset:         290
        .size:           2
        .value_kind:     hidden_remainder_x
      - .offset:         292
        .size:           2
        .value_kind:     hidden_remainder_y
      - .offset:         294
        .size:           2
        .value_kind:     hidden_remainder_z
      - .offset:         312
        .size:           8
        .value_kind:     hidden_global_offset_x
      - .offset:         320
        .size:           8
        .value_kind:     hidden_global_offset_y
      - .offset:         328
        .size:           8
        .value_kind:     hidden_global_offset_z
      - .offset:         336
        .size:           2
        .value_kind:     hidden_grid_dims
    .group_segment_fixed_size: 0
    .kernarg_segment_align: 8
    .kernarg_segment_size: 528
    .language:       OpenCL C
    .language_version:
      - 2
      - 0
    .max_flat_workgroup_size: 1024
    .name:           naive_conv_ab_nonpacked_fwd_ncdhw_int8_t_int32_t_int32_t
    .private_segment_fixed_size: 0
    .sgpr_count:     86
    .sgpr_spill_count: 0
    .symbol:         naive_conv_ab_nonpacked_fwd_ncdhw_int8_t_int32_t_int32_t.kd
    .uniform_work_group_size: 1
    .uses_dynamic_stack: false
    .vgpr_count:     18
    .vgpr_spill_count: 0
    .wavefront_size: 32
  - .args:
      - .actual_access:  read_only
        .address_space:  global
        .offset:         0
        .size:           8
        .value_kind:     global_buffer
      - .actual_access:  read_only
        .address_space:  global
        .offset:         8
        .size:           8
        .value_kind:     global_buffer
      - .offset:         16
        .size:           8
        .value_kind:     by_value
      - .offset:         24
        .size:           8
        .value_kind:     by_value
      - .address_space:  global
        .offset:         32
        .size:           8
        .value_kind:     global_buffer
      - .offset:         40
        .size:           48
        .value_kind:     by_value
      - .offset:         88
        .size:           48
        .value_kind:     by_value
      - .offset:         136
        .size:           48
        .value_kind:     by_value
      - .offset:         184
        .size:           4
        .value_kind:     by_value
      - .offset:         188
        .size:           4
        .value_kind:     by_value
      - .offset:         192
        .size:           4
        .value_kind:     by_value
      - .offset:         196
        .size:           4
        .value_kind:     by_value
      - .offset:         200
        .size:           4
        .value_kind:     by_value
      - .offset:         204
        .size:           4
        .value_kind:     by_value
      - .offset:         208
        .size:           4
        .value_kind:     by_value
      - .offset:         212
        .size:           4
        .value_kind:     by_value
      - .offset:         216
        .size:           4
        .value_kind:     by_value
      - .offset:         220
        .size:           4
        .value_kind:     by_value
      - .offset:         224
        .size:           4
        .value_kind:     by_value
      - .offset:         228
        .size:           4
        .value_kind:     by_value
      - .offset:         232
        .size:           4
        .value_kind:     by_value
      - .offset:         236
        .size:           4
        .value_kind:     by_value
      - .offset:         240
        .size:           4
        .value_kind:     by_value
      - .offset:         244
        .size:           4
        .value_kind:     by_value
      - .offset:         248
        .size:           4
        .value_kind:     by_value
      - .offset:         252
        .size:           4
        .value_kind:     by_value
      - .offset:         256
        .size:           4
        .value_kind:     by_value
      - .offset:         260
        .size:           4
        .value_kind:     by_value
      - .offset:         264
        .size:           4
        .value_kind:     by_value
      - .offset:         268
        .size:           4
        .value_kind:     by_value
      - .offset:         272
        .size:           4
        .value_kind:     hidden_block_count_x
      - .offset:         276
        .size:           4
        .value_kind:     hidden_block_count_y
      - .offset:         280
        .size:           4
        .value_kind:     hidden_block_count_z
      - .offset:         284
        .size:           2
        .value_kind:     hidden_group_size_x
      - .offset:         286
        .size:           2
        .value_kind:     hidden_group_size_y
      - .offset:         288
        .size:           2
        .value_kind:     hidden_group_size_z
      - .offset:         290
        .size:           2
        .value_kind:     hidden_remainder_x
      - .offset:         292
        .size:           2
        .value_kind:     hidden_remainder_y
      - .offset:         294
        .size:           2
        .value_kind:     hidden_remainder_z
      - .offset:         312
        .size:           8
        .value_kind:     hidden_global_offset_x
      - .offset:         320
        .size:           8
        .value_kind:     hidden_global_offset_y
      - .offset:         328
        .size:           8
        .value_kind:     hidden_global_offset_z
      - .offset:         336
        .size:           2
        .value_kind:     hidden_grid_dims
    .group_segment_fixed_size: 0
    .kernarg_segment_align: 8
    .kernarg_segment_size: 528
    .language:       OpenCL C
    .language_version:
      - 2
      - 0
    .max_flat_workgroup_size: 1024
    .name:           naive_conv_ab_packed_fwd_ncdhw_int8_t_int32_t_float
    .private_segment_fixed_size: 0
    .sgpr_count:     73
    .sgpr_spill_count: 0
    .symbol:         naive_conv_ab_packed_fwd_ncdhw_int8_t_int32_t_float.kd
    .uniform_work_group_size: 1
    .uses_dynamic_stack: false
    .vgpr_count:     18
    .vgpr_spill_count: 0
    .wavefront_size: 32
  - .args:
      - .actual_access:  read_only
        .address_space:  global
        .offset:         0
        .size:           8
        .value_kind:     global_buffer
      - .actual_access:  read_only
        .address_space:  global
        .offset:         8
        .size:           8
        .value_kind:     global_buffer
      - .offset:         16
        .size:           8
        .value_kind:     by_value
      - .offset:         24
        .size:           8
        .value_kind:     by_value
      - .address_space:  global
        .offset:         32
        .size:           8
        .value_kind:     global_buffer
      - .offset:         40
        .size:           48
        .value_kind:     by_value
      - .offset:         88
        .size:           48
        .value_kind:     by_value
      - .offset:         136
        .size:           48
        .value_kind:     by_value
      - .offset:         184
        .size:           4
        .value_kind:     by_value
      - .offset:         188
        .size:           4
        .value_kind:     by_value
      - .offset:         192
        .size:           4
        .value_kind:     by_value
      - .offset:         196
        .size:           4
        .value_kind:     by_value
      - .offset:         200
        .size:           4
        .value_kind:     by_value
      - .offset:         204
        .size:           4
        .value_kind:     by_value
      - .offset:         208
        .size:           4
        .value_kind:     by_value
      - .offset:         212
        .size:           4
        .value_kind:     by_value
      - .offset:         216
        .size:           4
        .value_kind:     by_value
      - .offset:         220
        .size:           4
        .value_kind:     by_value
      - .offset:         224
        .size:           4
        .value_kind:     by_value
      - .offset:         228
        .size:           4
        .value_kind:     by_value
      - .offset:         232
        .size:           4
        .value_kind:     by_value
      - .offset:         236
        .size:           4
        .value_kind:     by_value
      - .offset:         240
        .size:           4
        .value_kind:     by_value
      - .offset:         244
        .size:           4
        .value_kind:     by_value
      - .offset:         248
        .size:           4
        .value_kind:     by_value
      - .offset:         252
        .size:           4
        .value_kind:     by_value
      - .offset:         256
        .size:           4
        .value_kind:     by_value
      - .offset:         260
        .size:           4
        .value_kind:     by_value
      - .offset:         264
        .size:           4
        .value_kind:     by_value
      - .offset:         268
        .size:           4
        .value_kind:     by_value
      - .offset:         272
        .size:           4
        .value_kind:     hidden_block_count_x
      - .offset:         276
        .size:           4
        .value_kind:     hidden_block_count_y
      - .offset:         280
        .size:           4
        .value_kind:     hidden_block_count_z
      - .offset:         284
        .size:           2
        .value_kind:     hidden_group_size_x
      - .offset:         286
        .size:           2
        .value_kind:     hidden_group_size_y
      - .offset:         288
        .size:           2
        .value_kind:     hidden_group_size_z
      - .offset:         290
        .size:           2
        .value_kind:     hidden_remainder_x
      - .offset:         292
        .size:           2
        .value_kind:     hidden_remainder_y
      - .offset:         294
        .size:           2
        .value_kind:     hidden_remainder_z
      - .offset:         312
        .size:           8
        .value_kind:     hidden_global_offset_x
      - .offset:         320
        .size:           8
        .value_kind:     hidden_global_offset_y
      - .offset:         328
        .size:           8
        .value_kind:     hidden_global_offset_z
      - .offset:         336
        .size:           2
        .value_kind:     hidden_grid_dims
    .group_segment_fixed_size: 0
    .kernarg_segment_align: 8
    .kernarg_segment_size: 528
    .language:       OpenCL C
    .language_version:
      - 2
      - 0
    .max_flat_workgroup_size: 1024
    .name:           naive_conv_ab_nonpacked_fwd_ncdhw_int8_t_int32_t_float
    .private_segment_fixed_size: 0
    .sgpr_count:     86
    .sgpr_spill_count: 0
    .symbol:         naive_conv_ab_nonpacked_fwd_ncdhw_int8_t_int32_t_float.kd
    .uniform_work_group_size: 1
    .uses_dynamic_stack: false
    .vgpr_count:     18
    .vgpr_spill_count: 0
    .wavefront_size: 32
  - .args:
      - .actual_access:  read_only
        .address_space:  global
        .offset:         0
        .size:           8
        .value_kind:     global_buffer
      - .actual_access:  read_only
        .address_space:  global
        .offset:         8
        .size:           8
        .value_kind:     global_buffer
      - .offset:         16
        .size:           8
        .value_kind:     by_value
      - .offset:         24
        .size:           8
        .value_kind:     by_value
      - .address_space:  global
        .offset:         32
        .size:           8
        .value_kind:     global_buffer
      - .offset:         40
        .size:           48
        .value_kind:     by_value
      - .offset:         88
        .size:           48
        .value_kind:     by_value
      - .offset:         136
        .size:           48
        .value_kind:     by_value
      - .offset:         184
        .size:           4
        .value_kind:     by_value
      - .offset:         188
        .size:           4
        .value_kind:     by_value
      - .offset:         192
        .size:           4
        .value_kind:     by_value
      - .offset:         196
        .size:           4
        .value_kind:     by_value
      - .offset:         200
        .size:           4
        .value_kind:     by_value
      - .offset:         204
        .size:           4
        .value_kind:     by_value
      - .offset:         208
        .size:           4
        .value_kind:     by_value
      - .offset:         212
        .size:           4
        .value_kind:     by_value
      - .offset:         216
        .size:           4
        .value_kind:     by_value
      - .offset:         220
        .size:           4
        .value_kind:     by_value
      - .offset:         224
        .size:           4
        .value_kind:     by_value
      - .offset:         228
        .size:           4
        .value_kind:     by_value
      - .offset:         232
        .size:           4
        .value_kind:     by_value
      - .offset:         236
        .size:           4
        .value_kind:     by_value
      - .offset:         240
        .size:           4
        .value_kind:     by_value
      - .offset:         244
        .size:           4
        .value_kind:     by_value
      - .offset:         248
        .size:           4
        .value_kind:     by_value
      - .offset:         252
        .size:           4
        .value_kind:     by_value
      - .offset:         256
        .size:           4
        .value_kind:     by_value
      - .offset:         260
        .size:           4
        .value_kind:     by_value
      - .offset:         264
        .size:           4
        .value_kind:     by_value
      - .offset:         268
        .size:           4
        .value_kind:     by_value
      - .offset:         272
        .size:           4
        .value_kind:     hidden_block_count_x
      - .offset:         276
        .size:           4
        .value_kind:     hidden_block_count_y
      - .offset:         280
        .size:           4
        .value_kind:     hidden_block_count_z
      - .offset:         284
        .size:           2
        .value_kind:     hidden_group_size_x
      - .offset:         286
        .size:           2
        .value_kind:     hidden_group_size_y
      - .offset:         288
        .size:           2
        .value_kind:     hidden_group_size_z
      - .offset:         290
        .size:           2
        .value_kind:     hidden_remainder_x
      - .offset:         292
        .size:           2
        .value_kind:     hidden_remainder_y
      - .offset:         294
        .size:           2
        .value_kind:     hidden_remainder_z
      - .offset:         312
        .size:           8
        .value_kind:     hidden_global_offset_x
      - .offset:         320
        .size:           8
        .value_kind:     hidden_global_offset_y
      - .offset:         328
        .size:           8
        .value_kind:     hidden_global_offset_z
      - .offset:         336
        .size:           2
        .value_kind:     hidden_grid_dims
    .group_segment_fixed_size: 0
    .kernarg_segment_align: 8
    .kernarg_segment_size: 528
    .language:       OpenCL C
    .language_version:
      - 2
      - 0
    .max_flat_workgroup_size: 1024
    .name:           naive_conv_ab_packed_fwd_ndhwc_float_double_float
    .private_segment_fixed_size: 0
    .sgpr_count:     79
    .sgpr_spill_count: 0
    .symbol:         naive_conv_ab_packed_fwd_ndhwc_float_double_float.kd
    .uniform_work_group_size: 1
    .uses_dynamic_stack: false
    .vgpr_count:     30
    .vgpr_spill_count: 0
    .wavefront_size: 32
  - .args:
      - .actual_access:  read_only
        .address_space:  global
        .offset:         0
        .size:           8
        .value_kind:     global_buffer
      - .actual_access:  read_only
        .address_space:  global
        .offset:         8
        .size:           8
        .value_kind:     global_buffer
      - .offset:         16
        .size:           8
        .value_kind:     by_value
      - .offset:         24
        .size:           8
        .value_kind:     by_value
      - .address_space:  global
        .offset:         32
        .size:           8
        .value_kind:     global_buffer
      - .offset:         40
        .size:           48
        .value_kind:     by_value
      - .offset:         88
        .size:           48
        .value_kind:     by_value
      - .offset:         136
        .size:           48
        .value_kind:     by_value
      - .offset:         184
        .size:           4
        .value_kind:     by_value
      - .offset:         188
        .size:           4
        .value_kind:     by_value
      - .offset:         192
        .size:           4
        .value_kind:     by_value
      - .offset:         196
        .size:           4
        .value_kind:     by_value
      - .offset:         200
        .size:           4
        .value_kind:     by_value
      - .offset:         204
        .size:           4
        .value_kind:     by_value
      - .offset:         208
        .size:           4
        .value_kind:     by_value
      - .offset:         212
        .size:           4
        .value_kind:     by_value
      - .offset:         216
        .size:           4
        .value_kind:     by_value
      - .offset:         220
        .size:           4
        .value_kind:     by_value
      - .offset:         224
        .size:           4
        .value_kind:     by_value
      - .offset:         228
        .size:           4
        .value_kind:     by_value
      - .offset:         232
        .size:           4
        .value_kind:     by_value
      - .offset:         236
        .size:           4
        .value_kind:     by_value
      - .offset:         240
        .size:           4
        .value_kind:     by_value
      - .offset:         244
        .size:           4
        .value_kind:     by_value
      - .offset:         248
        .size:           4
        .value_kind:     by_value
      - .offset:         252
        .size:           4
        .value_kind:     by_value
      - .offset:         256
        .size:           4
        .value_kind:     by_value
      - .offset:         260
        .size:           4
        .value_kind:     by_value
      - .offset:         264
        .size:           4
        .value_kind:     by_value
      - .offset:         268
        .size:           4
        .value_kind:     by_value
      - .offset:         272
        .size:           4
        .value_kind:     hidden_block_count_x
      - .offset:         276
        .size:           4
        .value_kind:     hidden_block_count_y
      - .offset:         280
        .size:           4
        .value_kind:     hidden_block_count_z
      - .offset:         284
        .size:           2
        .value_kind:     hidden_group_size_x
      - .offset:         286
        .size:           2
        .value_kind:     hidden_group_size_y
      - .offset:         288
        .size:           2
        .value_kind:     hidden_group_size_z
      - .offset:         290
        .size:           2
        .value_kind:     hidden_remainder_x
      - .offset:         292
        .size:           2
        .value_kind:     hidden_remainder_y
      - .offset:         294
        .size:           2
        .value_kind:     hidden_remainder_z
      - .offset:         312
        .size:           8
        .value_kind:     hidden_global_offset_x
      - .offset:         320
        .size:           8
        .value_kind:     hidden_global_offset_y
      - .offset:         328
        .size:           8
        .value_kind:     hidden_global_offset_z
      - .offset:         336
        .size:           2
        .value_kind:     hidden_grid_dims
    .group_segment_fixed_size: 0
    .kernarg_segment_align: 8
    .kernarg_segment_size: 528
    .language:       OpenCL C
    .language_version:
      - 2
      - 0
    .max_flat_workgroup_size: 1024
    .name:           naive_conv_ab_nonpacked_fwd_ndhwc_float_double_float
    .private_segment_fixed_size: 0
    .sgpr_count:     85
    .sgpr_spill_count: 0
    .symbol:         naive_conv_ab_nonpacked_fwd_ndhwc_float_double_float.kd
    .uniform_work_group_size: 1
    .uses_dynamic_stack: false
    .vgpr_count:     28
    .vgpr_spill_count: 0
    .wavefront_size: 32
  - .args:
      - .actual_access:  read_only
        .address_space:  global
        .offset:         0
        .size:           8
        .value_kind:     global_buffer
      - .actual_access:  read_only
        .address_space:  global
        .offset:         8
        .size:           8
        .value_kind:     global_buffer
      - .offset:         16
        .size:           8
        .value_kind:     by_value
      - .offset:         24
        .size:           8
        .value_kind:     by_value
      - .address_space:  global
        .offset:         32
        .size:           8
        .value_kind:     global_buffer
      - .offset:         40
        .size:           48
        .value_kind:     by_value
      - .offset:         88
        .size:           48
        .value_kind:     by_value
      - .offset:         136
        .size:           48
        .value_kind:     by_value
      - .offset:         184
        .size:           4
        .value_kind:     by_value
      - .offset:         188
        .size:           4
        .value_kind:     by_value
      - .offset:         192
        .size:           4
        .value_kind:     by_value
      - .offset:         196
        .size:           4
        .value_kind:     by_value
      - .offset:         200
        .size:           4
        .value_kind:     by_value
      - .offset:         204
        .size:           4
        .value_kind:     by_value
      - .offset:         208
        .size:           4
        .value_kind:     by_value
      - .offset:         212
        .size:           4
        .value_kind:     by_value
      - .offset:         216
        .size:           4
        .value_kind:     by_value
      - .offset:         220
        .size:           4
        .value_kind:     by_value
      - .offset:         224
        .size:           4
        .value_kind:     by_value
      - .offset:         228
        .size:           4
        .value_kind:     by_value
      - .offset:         232
        .size:           4
        .value_kind:     by_value
      - .offset:         236
        .size:           4
        .value_kind:     by_value
      - .offset:         240
        .size:           4
        .value_kind:     by_value
      - .offset:         244
        .size:           4
        .value_kind:     by_value
      - .offset:         248
        .size:           4
        .value_kind:     by_value
      - .offset:         252
        .size:           4
        .value_kind:     by_value
      - .offset:         256
        .size:           4
        .value_kind:     by_value
      - .offset:         260
        .size:           4
        .value_kind:     by_value
      - .offset:         264
        .size:           4
        .value_kind:     by_value
      - .offset:         268
        .size:           4
        .value_kind:     by_value
      - .offset:         272
        .size:           4
        .value_kind:     hidden_block_count_x
      - .offset:         276
        .size:           4
        .value_kind:     hidden_block_count_y
      - .offset:         280
        .size:           4
        .value_kind:     hidden_block_count_z
      - .offset:         284
        .size:           2
        .value_kind:     hidden_group_size_x
      - .offset:         286
        .size:           2
        .value_kind:     hidden_group_size_y
      - .offset:         288
        .size:           2
        .value_kind:     hidden_group_size_z
      - .offset:         290
        .size:           2
        .value_kind:     hidden_remainder_x
      - .offset:         292
        .size:           2
        .value_kind:     hidden_remainder_y
      - .offset:         294
        .size:           2
        .value_kind:     hidden_remainder_z
      - .offset:         312
        .size:           8
        .value_kind:     hidden_global_offset_x
      - .offset:         320
        .size:           8
        .value_kind:     hidden_global_offset_y
      - .offset:         328
        .size:           8
        .value_kind:     hidden_global_offset_z
      - .offset:         336
        .size:           2
        .value_kind:     hidden_grid_dims
    .group_segment_fixed_size: 0
    .kernarg_segment_align: 8
    .kernarg_segment_size: 528
    .language:       OpenCL C
    .language_version:
      - 2
      - 0
    .max_flat_workgroup_size: 1024
    .name:           naive_conv_ab_packed_fwd_ndhwc_half_double_half
    .private_segment_fixed_size: 0
    .sgpr_count:     79
    .sgpr_spill_count: 0
    .symbol:         naive_conv_ab_packed_fwd_ndhwc_half_double_half.kd
    .uniform_work_group_size: 1
    .uses_dynamic_stack: false
    .vgpr_count:     30
    .vgpr_spill_count: 0
    .wavefront_size: 32
  - .args:
      - .actual_access:  read_only
        .address_space:  global
        .offset:         0
        .size:           8
        .value_kind:     global_buffer
      - .actual_access:  read_only
        .address_space:  global
        .offset:         8
        .size:           8
        .value_kind:     global_buffer
      - .offset:         16
        .size:           8
        .value_kind:     by_value
      - .offset:         24
        .size:           8
        .value_kind:     by_value
      - .address_space:  global
        .offset:         32
        .size:           8
        .value_kind:     global_buffer
      - .offset:         40
        .size:           48
        .value_kind:     by_value
      - .offset:         88
        .size:           48
        .value_kind:     by_value
      - .offset:         136
        .size:           48
        .value_kind:     by_value
      - .offset:         184
        .size:           4
        .value_kind:     by_value
      - .offset:         188
        .size:           4
        .value_kind:     by_value
      - .offset:         192
        .size:           4
        .value_kind:     by_value
      - .offset:         196
        .size:           4
        .value_kind:     by_value
      - .offset:         200
        .size:           4
        .value_kind:     by_value
      - .offset:         204
        .size:           4
        .value_kind:     by_value
      - .offset:         208
        .size:           4
        .value_kind:     by_value
      - .offset:         212
        .size:           4
        .value_kind:     by_value
      - .offset:         216
        .size:           4
        .value_kind:     by_value
      - .offset:         220
        .size:           4
        .value_kind:     by_value
      - .offset:         224
        .size:           4
        .value_kind:     by_value
      - .offset:         228
        .size:           4
        .value_kind:     by_value
      - .offset:         232
        .size:           4
        .value_kind:     by_value
      - .offset:         236
        .size:           4
        .value_kind:     by_value
      - .offset:         240
        .size:           4
        .value_kind:     by_value
      - .offset:         244
        .size:           4
        .value_kind:     by_value
      - .offset:         248
        .size:           4
        .value_kind:     by_value
      - .offset:         252
        .size:           4
        .value_kind:     by_value
      - .offset:         256
        .size:           4
        .value_kind:     by_value
      - .offset:         260
        .size:           4
        .value_kind:     by_value
      - .offset:         264
        .size:           4
        .value_kind:     by_value
      - .offset:         268
        .size:           4
        .value_kind:     by_value
      - .offset:         272
        .size:           4
        .value_kind:     hidden_block_count_x
      - .offset:         276
        .size:           4
        .value_kind:     hidden_block_count_y
      - .offset:         280
        .size:           4
        .value_kind:     hidden_block_count_z
      - .offset:         284
        .size:           2
        .value_kind:     hidden_group_size_x
      - .offset:         286
        .size:           2
        .value_kind:     hidden_group_size_y
      - .offset:         288
        .size:           2
        .value_kind:     hidden_group_size_z
      - .offset:         290
        .size:           2
        .value_kind:     hidden_remainder_x
      - .offset:         292
        .size:           2
        .value_kind:     hidden_remainder_y
      - .offset:         294
        .size:           2
        .value_kind:     hidden_remainder_z
      - .offset:         312
        .size:           8
        .value_kind:     hidden_global_offset_x
      - .offset:         320
        .size:           8
        .value_kind:     hidden_global_offset_y
      - .offset:         328
        .size:           8
        .value_kind:     hidden_global_offset_z
      - .offset:         336
        .size:           2
        .value_kind:     hidden_grid_dims
    .group_segment_fixed_size: 0
    .kernarg_segment_align: 8
    .kernarg_segment_size: 528
    .language:       OpenCL C
    .language_version:
      - 2
      - 0
    .max_flat_workgroup_size: 1024
    .name:           naive_conv_ab_nonpacked_fwd_ndhwc_half_double_half
    .private_segment_fixed_size: 0
    .sgpr_count:     85
    .sgpr_spill_count: 0
    .symbol:         naive_conv_ab_nonpacked_fwd_ndhwc_half_double_half.kd
    .uniform_work_group_size: 1
    .uses_dynamic_stack: false
    .vgpr_count:     30
    .vgpr_spill_count: 0
    .wavefront_size: 32
  - .args:
      - .actual_access:  read_only
        .address_space:  global
        .offset:         0
        .size:           8
        .value_kind:     global_buffer
      - .actual_access:  read_only
        .address_space:  global
        .offset:         8
        .size:           8
        .value_kind:     global_buffer
      - .offset:         16
        .size:           8
        .value_kind:     by_value
      - .offset:         24
        .size:           8
        .value_kind:     by_value
      - .address_space:  global
        .offset:         32
        .size:           8
        .value_kind:     global_buffer
      - .offset:         40
        .size:           48
        .value_kind:     by_value
      - .offset:         88
        .size:           48
        .value_kind:     by_value
      - .offset:         136
        .size:           48
        .value_kind:     by_value
      - .offset:         184
        .size:           4
        .value_kind:     by_value
      - .offset:         188
        .size:           4
        .value_kind:     by_value
      - .offset:         192
        .size:           4
        .value_kind:     by_value
      - .offset:         196
        .size:           4
        .value_kind:     by_value
      - .offset:         200
        .size:           4
        .value_kind:     by_value
      - .offset:         204
        .size:           4
        .value_kind:     by_value
      - .offset:         208
        .size:           4
        .value_kind:     by_value
      - .offset:         212
        .size:           4
        .value_kind:     by_value
      - .offset:         216
        .size:           4
        .value_kind:     by_value
      - .offset:         220
        .size:           4
        .value_kind:     by_value
      - .offset:         224
        .size:           4
        .value_kind:     by_value
      - .offset:         228
        .size:           4
        .value_kind:     by_value
      - .offset:         232
        .size:           4
        .value_kind:     by_value
      - .offset:         236
        .size:           4
        .value_kind:     by_value
      - .offset:         240
        .size:           4
        .value_kind:     by_value
      - .offset:         244
        .size:           4
        .value_kind:     by_value
      - .offset:         248
        .size:           4
        .value_kind:     by_value
      - .offset:         252
        .size:           4
        .value_kind:     by_value
      - .offset:         256
        .size:           4
        .value_kind:     by_value
      - .offset:         260
        .size:           4
        .value_kind:     by_value
      - .offset:         264
        .size:           4
        .value_kind:     by_value
      - .offset:         268
        .size:           4
        .value_kind:     by_value
      - .offset:         272
        .size:           4
        .value_kind:     hidden_block_count_x
      - .offset:         276
        .size:           4
        .value_kind:     hidden_block_count_y
      - .offset:         280
        .size:           4
        .value_kind:     hidden_block_count_z
      - .offset:         284
        .size:           2
        .value_kind:     hidden_group_size_x
      - .offset:         286
        .size:           2
        .value_kind:     hidden_group_size_y
      - .offset:         288
        .size:           2
        .value_kind:     hidden_group_size_z
      - .offset:         290
        .size:           2
        .value_kind:     hidden_remainder_x
      - .offset:         292
        .size:           2
        .value_kind:     hidden_remainder_y
      - .offset:         294
        .size:           2
        .value_kind:     hidden_remainder_z
      - .offset:         312
        .size:           8
        .value_kind:     hidden_global_offset_x
      - .offset:         320
        .size:           8
        .value_kind:     hidden_global_offset_y
      - .offset:         328
        .size:           8
        .value_kind:     hidden_global_offset_z
      - .offset:         336
        .size:           2
        .value_kind:     hidden_grid_dims
    .group_segment_fixed_size: 0
    .kernarg_segment_align: 8
    .kernarg_segment_size: 528
    .language:       OpenCL C
    .language_version:
      - 2
      - 0
    .max_flat_workgroup_size: 1024
    .name:           naive_conv_ab_packed_fwd_ndhwc_ushort_double_ushort
    .private_segment_fixed_size: 0
    .sgpr_count:     79
    .sgpr_spill_count: 0
    .symbol:         naive_conv_ab_packed_fwd_ndhwc_ushort_double_ushort.kd
    .uniform_work_group_size: 1
    .uses_dynamic_stack: false
    .vgpr_count:     30
    .vgpr_spill_count: 0
    .wavefront_size: 32
  - .args:
      - .actual_access:  read_only
        .address_space:  global
        .offset:         0
        .size:           8
        .value_kind:     global_buffer
      - .actual_access:  read_only
        .address_space:  global
        .offset:         8
        .size:           8
        .value_kind:     global_buffer
      - .offset:         16
        .size:           8
        .value_kind:     by_value
      - .offset:         24
        .size:           8
        .value_kind:     by_value
      - .address_space:  global
        .offset:         32
        .size:           8
        .value_kind:     global_buffer
      - .offset:         40
        .size:           48
        .value_kind:     by_value
      - .offset:         88
        .size:           48
        .value_kind:     by_value
      - .offset:         136
        .size:           48
        .value_kind:     by_value
      - .offset:         184
        .size:           4
        .value_kind:     by_value
      - .offset:         188
        .size:           4
        .value_kind:     by_value
      - .offset:         192
        .size:           4
        .value_kind:     by_value
      - .offset:         196
        .size:           4
        .value_kind:     by_value
      - .offset:         200
        .size:           4
        .value_kind:     by_value
      - .offset:         204
        .size:           4
        .value_kind:     by_value
      - .offset:         208
        .size:           4
        .value_kind:     by_value
      - .offset:         212
        .size:           4
        .value_kind:     by_value
      - .offset:         216
        .size:           4
        .value_kind:     by_value
      - .offset:         220
        .size:           4
        .value_kind:     by_value
      - .offset:         224
        .size:           4
        .value_kind:     by_value
      - .offset:         228
        .size:           4
        .value_kind:     by_value
      - .offset:         232
        .size:           4
        .value_kind:     by_value
      - .offset:         236
        .size:           4
        .value_kind:     by_value
      - .offset:         240
        .size:           4
        .value_kind:     by_value
      - .offset:         244
        .size:           4
        .value_kind:     by_value
      - .offset:         248
        .size:           4
        .value_kind:     by_value
      - .offset:         252
        .size:           4
        .value_kind:     by_value
      - .offset:         256
        .size:           4
        .value_kind:     by_value
      - .offset:         260
        .size:           4
        .value_kind:     by_value
      - .offset:         264
        .size:           4
        .value_kind:     by_value
      - .offset:         268
        .size:           4
        .value_kind:     by_value
      - .offset:         272
        .size:           4
        .value_kind:     hidden_block_count_x
      - .offset:         276
        .size:           4
        .value_kind:     hidden_block_count_y
      - .offset:         280
        .size:           4
        .value_kind:     hidden_block_count_z
      - .offset:         284
        .size:           2
        .value_kind:     hidden_group_size_x
      - .offset:         286
        .size:           2
        .value_kind:     hidden_group_size_y
      - .offset:         288
        .size:           2
        .value_kind:     hidden_group_size_z
      - .offset:         290
        .size:           2
        .value_kind:     hidden_remainder_x
      - .offset:         292
        .size:           2
        .value_kind:     hidden_remainder_y
      - .offset:         294
        .size:           2
        .value_kind:     hidden_remainder_z
      - .offset:         312
        .size:           8
        .value_kind:     hidden_global_offset_x
      - .offset:         320
        .size:           8
        .value_kind:     hidden_global_offset_y
      - .offset:         328
        .size:           8
        .value_kind:     hidden_global_offset_z
      - .offset:         336
        .size:           2
        .value_kind:     hidden_grid_dims
    .group_segment_fixed_size: 0
    .kernarg_segment_align: 8
    .kernarg_segment_size: 528
    .language:       OpenCL C
    .language_version:
      - 2
      - 0
    .max_flat_workgroup_size: 1024
    .name:           naive_conv_ab_nonpacked_fwd_ndhwc_ushort_double_ushort
    .private_segment_fixed_size: 0
    .sgpr_count:     85
    .sgpr_spill_count: 0
    .symbol:         naive_conv_ab_nonpacked_fwd_ndhwc_ushort_double_ushort.kd
    .uniform_work_group_size: 1
    .uses_dynamic_stack: false
    .vgpr_count:     28
    .vgpr_spill_count: 0
    .wavefront_size: 32
  - .args:
      - .actual_access:  read_only
        .address_space:  global
        .offset:         0
        .size:           8
        .value_kind:     global_buffer
      - .actual_access:  read_only
        .address_space:  global
        .offset:         8
        .size:           8
        .value_kind:     global_buffer
      - .offset:         16
        .size:           8
        .value_kind:     by_value
      - .offset:         24
        .size:           8
        .value_kind:     by_value
      - .address_space:  global
        .offset:         32
        .size:           8
        .value_kind:     global_buffer
      - .offset:         40
        .size:           48
        .value_kind:     by_value
      - .offset:         88
        .size:           48
        .value_kind:     by_value
      - .offset:         136
        .size:           48
        .value_kind:     by_value
      - .offset:         184
        .size:           4
        .value_kind:     by_value
      - .offset:         188
        .size:           4
        .value_kind:     by_value
      - .offset:         192
        .size:           4
        .value_kind:     by_value
      - .offset:         196
        .size:           4
        .value_kind:     by_value
      - .offset:         200
        .size:           4
        .value_kind:     by_value
      - .offset:         204
        .size:           4
        .value_kind:     by_value
      - .offset:         208
        .size:           4
        .value_kind:     by_value
      - .offset:         212
        .size:           4
        .value_kind:     by_value
      - .offset:         216
        .size:           4
        .value_kind:     by_value
      - .offset:         220
        .size:           4
        .value_kind:     by_value
      - .offset:         224
        .size:           4
        .value_kind:     by_value
      - .offset:         228
        .size:           4
        .value_kind:     by_value
      - .offset:         232
        .size:           4
        .value_kind:     by_value
      - .offset:         236
        .size:           4
        .value_kind:     by_value
      - .offset:         240
        .size:           4
        .value_kind:     by_value
      - .offset:         244
        .size:           4
        .value_kind:     by_value
      - .offset:         248
        .size:           4
        .value_kind:     by_value
      - .offset:         252
        .size:           4
        .value_kind:     by_value
      - .offset:         256
        .size:           4
        .value_kind:     by_value
      - .offset:         260
        .size:           4
        .value_kind:     by_value
      - .offset:         264
        .size:           4
        .value_kind:     by_value
      - .offset:         268
        .size:           4
        .value_kind:     by_value
      - .offset:         272
        .size:           4
        .value_kind:     hidden_block_count_x
      - .offset:         276
        .size:           4
        .value_kind:     hidden_block_count_y
      - .offset:         280
        .size:           4
        .value_kind:     hidden_block_count_z
      - .offset:         284
        .size:           2
        .value_kind:     hidden_group_size_x
      - .offset:         286
        .size:           2
        .value_kind:     hidden_group_size_y
      - .offset:         288
        .size:           2
        .value_kind:     hidden_group_size_z
      - .offset:         290
        .size:           2
        .value_kind:     hidden_remainder_x
      - .offset:         292
        .size:           2
        .value_kind:     hidden_remainder_y
      - .offset:         294
        .size:           2
        .value_kind:     hidden_remainder_z
      - .offset:         312
        .size:           8
        .value_kind:     hidden_global_offset_x
      - .offset:         320
        .size:           8
        .value_kind:     hidden_global_offset_y
      - .offset:         328
        .size:           8
        .value_kind:     hidden_global_offset_z
      - .offset:         336
        .size:           2
        .value_kind:     hidden_grid_dims
    .group_segment_fixed_size: 0
    .kernarg_segment_align: 8
    .kernarg_segment_size: 528
    .language:       OpenCL C
    .language_version:
      - 2
      - 0
    .max_flat_workgroup_size: 1024
    .name:           naive_conv_ab_packed_fwd_ndhwc_int8_t_int32_t_int32_t
    .private_segment_fixed_size: 0
    .sgpr_count:     75
    .sgpr_spill_count: 0
    .symbol:         naive_conv_ab_packed_fwd_ndhwc_int8_t_int32_t_int32_t.kd
    .uniform_work_group_size: 1
    .uses_dynamic_stack: false
    .vgpr_count:     27
    .vgpr_spill_count: 0
    .wavefront_size: 32
  - .args:
      - .actual_access:  read_only
        .address_space:  global
        .offset:         0
        .size:           8
        .value_kind:     global_buffer
      - .actual_access:  read_only
        .address_space:  global
        .offset:         8
        .size:           8
        .value_kind:     global_buffer
      - .offset:         16
        .size:           8
        .value_kind:     by_value
      - .offset:         24
        .size:           8
        .value_kind:     by_value
      - .address_space:  global
        .offset:         32
        .size:           8
        .value_kind:     global_buffer
      - .offset:         40
        .size:           48
        .value_kind:     by_value
      - .offset:         88
        .size:           48
        .value_kind:     by_value
      - .offset:         136
        .size:           48
        .value_kind:     by_value
      - .offset:         184
        .size:           4
        .value_kind:     by_value
      - .offset:         188
        .size:           4
        .value_kind:     by_value
      - .offset:         192
        .size:           4
        .value_kind:     by_value
      - .offset:         196
        .size:           4
        .value_kind:     by_value
      - .offset:         200
        .size:           4
        .value_kind:     by_value
      - .offset:         204
        .size:           4
        .value_kind:     by_value
      - .offset:         208
        .size:           4
        .value_kind:     by_value
      - .offset:         212
        .size:           4
        .value_kind:     by_value
      - .offset:         216
        .size:           4
        .value_kind:     by_value
      - .offset:         220
        .size:           4
        .value_kind:     by_value
      - .offset:         224
        .size:           4
        .value_kind:     by_value
      - .offset:         228
        .size:           4
        .value_kind:     by_value
      - .offset:         232
        .size:           4
        .value_kind:     by_value
      - .offset:         236
        .size:           4
        .value_kind:     by_value
      - .offset:         240
        .size:           4
        .value_kind:     by_value
      - .offset:         244
        .size:           4
        .value_kind:     by_value
      - .offset:         248
        .size:           4
        .value_kind:     by_value
      - .offset:         252
        .size:           4
        .value_kind:     by_value
      - .offset:         256
        .size:           4
        .value_kind:     by_value
      - .offset:         260
        .size:           4
        .value_kind:     by_value
      - .offset:         264
        .size:           4
        .value_kind:     by_value
      - .offset:         268
        .size:           4
        .value_kind:     by_value
      - .offset:         272
        .size:           4
        .value_kind:     hidden_block_count_x
      - .offset:         276
        .size:           4
        .value_kind:     hidden_block_count_y
      - .offset:         280
        .size:           4
        .value_kind:     hidden_block_count_z
      - .offset:         284
        .size:           2
        .value_kind:     hidden_group_size_x
      - .offset:         286
        .size:           2
        .value_kind:     hidden_group_size_y
      - .offset:         288
        .size:           2
        .value_kind:     hidden_group_size_z
      - .offset:         290
        .size:           2
        .value_kind:     hidden_remainder_x
      - .offset:         292
        .size:           2
        .value_kind:     hidden_remainder_y
      - .offset:         294
        .size:           2
        .value_kind:     hidden_remainder_z
      - .offset:         312
        .size:           8
        .value_kind:     hidden_global_offset_x
      - .offset:         320
        .size:           8
        .value_kind:     hidden_global_offset_y
      - .offset:         328
        .size:           8
        .value_kind:     hidden_global_offset_z
      - .offset:         336
        .size:           2
        .value_kind:     hidden_grid_dims
    .group_segment_fixed_size: 0
    .kernarg_segment_align: 8
    .kernarg_segment_size: 528
    .language:       OpenCL C
    .language_version:
      - 2
      - 0
    .max_flat_workgroup_size: 1024
    .name:           naive_conv_ab_nonpacked_fwd_ndhwc_int8_t_int32_t_int32_t
    .private_segment_fixed_size: 0
    .sgpr_count:     86
    .sgpr_spill_count: 0
    .symbol:         naive_conv_ab_nonpacked_fwd_ndhwc_int8_t_int32_t_int32_t.kd
    .uniform_work_group_size: 1
    .uses_dynamic_stack: false
    .vgpr_count:     27
    .vgpr_spill_count: 0
    .wavefront_size: 32
  - .args:
      - .actual_access:  read_only
        .address_space:  global
        .offset:         0
        .size:           8
        .value_kind:     global_buffer
      - .actual_access:  read_only
        .address_space:  global
        .offset:         8
        .size:           8
        .value_kind:     global_buffer
      - .offset:         16
        .size:           8
        .value_kind:     by_value
      - .offset:         24
        .size:           8
        .value_kind:     by_value
      - .address_space:  global
        .offset:         32
        .size:           8
        .value_kind:     global_buffer
      - .offset:         40
        .size:           48
        .value_kind:     by_value
      - .offset:         88
        .size:           48
        .value_kind:     by_value
      - .offset:         136
        .size:           48
        .value_kind:     by_value
      - .offset:         184
        .size:           4
        .value_kind:     by_value
      - .offset:         188
        .size:           4
        .value_kind:     by_value
      - .offset:         192
        .size:           4
        .value_kind:     by_value
      - .offset:         196
        .size:           4
        .value_kind:     by_value
      - .offset:         200
        .size:           4
        .value_kind:     by_value
      - .offset:         204
        .size:           4
        .value_kind:     by_value
      - .offset:         208
        .size:           4
        .value_kind:     by_value
      - .offset:         212
        .size:           4
        .value_kind:     by_value
      - .offset:         216
        .size:           4
        .value_kind:     by_value
      - .offset:         220
        .size:           4
        .value_kind:     by_value
      - .offset:         224
        .size:           4
        .value_kind:     by_value
      - .offset:         228
        .size:           4
        .value_kind:     by_value
      - .offset:         232
        .size:           4
        .value_kind:     by_value
      - .offset:         236
        .size:           4
        .value_kind:     by_value
      - .offset:         240
        .size:           4
        .value_kind:     by_value
      - .offset:         244
        .size:           4
        .value_kind:     by_value
      - .offset:         248
        .size:           4
        .value_kind:     by_value
      - .offset:         252
        .size:           4
        .value_kind:     by_value
      - .offset:         256
        .size:           4
        .value_kind:     by_value
      - .offset:         260
        .size:           4
        .value_kind:     by_value
      - .offset:         264
        .size:           4
        .value_kind:     by_value
      - .offset:         268
        .size:           4
        .value_kind:     by_value
      - .offset:         272
        .size:           4
        .value_kind:     hidden_block_count_x
      - .offset:         276
        .size:           4
        .value_kind:     hidden_block_count_y
      - .offset:         280
        .size:           4
        .value_kind:     hidden_block_count_z
      - .offset:         284
        .size:           2
        .value_kind:     hidden_group_size_x
      - .offset:         286
        .size:           2
        .value_kind:     hidden_group_size_y
      - .offset:         288
        .size:           2
        .value_kind:     hidden_group_size_z
      - .offset:         290
        .size:           2
        .value_kind:     hidden_remainder_x
      - .offset:         292
        .size:           2
        .value_kind:     hidden_remainder_y
      - .offset:         294
        .size:           2
        .value_kind:     hidden_remainder_z
      - .offset:         312
        .size:           8
        .value_kind:     hidden_global_offset_x
      - .offset:         320
        .size:           8
        .value_kind:     hidden_global_offset_y
      - .offset:         328
        .size:           8
        .value_kind:     hidden_global_offset_z
      - .offset:         336
        .size:           2
        .value_kind:     hidden_grid_dims
    .group_segment_fixed_size: 0
    .kernarg_segment_align: 8
    .kernarg_segment_size: 528
    .language:       OpenCL C
    .language_version:
      - 2
      - 0
    .max_flat_workgroup_size: 1024
    .name:           naive_conv_ab_packed_fwd_ndhwc_int8_t_int32_t_float
    .private_segment_fixed_size: 0
    .sgpr_count:     75
    .sgpr_spill_count: 0
    .symbol:         naive_conv_ab_packed_fwd_ndhwc_int8_t_int32_t_float.kd
    .uniform_work_group_size: 1
    .uses_dynamic_stack: false
    .vgpr_count:     27
    .vgpr_spill_count: 0
    .wavefront_size: 32
  - .args:
      - .actual_access:  read_only
        .address_space:  global
        .offset:         0
        .size:           8
        .value_kind:     global_buffer
      - .actual_access:  read_only
        .address_space:  global
        .offset:         8
        .size:           8
        .value_kind:     global_buffer
      - .offset:         16
        .size:           8
        .value_kind:     by_value
      - .offset:         24
        .size:           8
        .value_kind:     by_value
      - .address_space:  global
        .offset:         32
        .size:           8
        .value_kind:     global_buffer
      - .offset:         40
        .size:           48
        .value_kind:     by_value
      - .offset:         88
        .size:           48
        .value_kind:     by_value
      - .offset:         136
        .size:           48
        .value_kind:     by_value
      - .offset:         184
        .size:           4
        .value_kind:     by_value
      - .offset:         188
        .size:           4
        .value_kind:     by_value
      - .offset:         192
        .size:           4
        .value_kind:     by_value
      - .offset:         196
        .size:           4
        .value_kind:     by_value
      - .offset:         200
        .size:           4
        .value_kind:     by_value
      - .offset:         204
        .size:           4
        .value_kind:     by_value
      - .offset:         208
        .size:           4
        .value_kind:     by_value
      - .offset:         212
        .size:           4
        .value_kind:     by_value
      - .offset:         216
        .size:           4
        .value_kind:     by_value
      - .offset:         220
        .size:           4
        .value_kind:     by_value
      - .offset:         224
        .size:           4
        .value_kind:     by_value
      - .offset:         228
        .size:           4
        .value_kind:     by_value
      - .offset:         232
        .size:           4
        .value_kind:     by_value
      - .offset:         236
        .size:           4
        .value_kind:     by_value
      - .offset:         240
        .size:           4
        .value_kind:     by_value
      - .offset:         244
        .size:           4
        .value_kind:     by_value
      - .offset:         248
        .size:           4
        .value_kind:     by_value
      - .offset:         252
        .size:           4
        .value_kind:     by_value
      - .offset:         256
        .size:           4
        .value_kind:     by_value
      - .offset:         260
        .size:           4
        .value_kind:     by_value
      - .offset:         264
        .size:           4
        .value_kind:     by_value
      - .offset:         268
        .size:           4
        .value_kind:     by_value
      - .offset:         272
        .size:           4
        .value_kind:     hidden_block_count_x
      - .offset:         276
        .size:           4
        .value_kind:     hidden_block_count_y
      - .offset:         280
        .size:           4
        .value_kind:     hidden_block_count_z
      - .offset:         284
        .size:           2
        .value_kind:     hidden_group_size_x
      - .offset:         286
        .size:           2
        .value_kind:     hidden_group_size_y
      - .offset:         288
        .size:           2
        .value_kind:     hidden_group_size_z
      - .offset:         290
        .size:           2
        .value_kind:     hidden_remainder_x
      - .offset:         292
        .size:           2
        .value_kind:     hidden_remainder_y
      - .offset:         294
        .size:           2
        .value_kind:     hidden_remainder_z
      - .offset:         312
        .size:           8
        .value_kind:     hidden_global_offset_x
      - .offset:         320
        .size:           8
        .value_kind:     hidden_global_offset_y
      - .offset:         328
        .size:           8
        .value_kind:     hidden_global_offset_z
      - .offset:         336
        .size:           2
        .value_kind:     hidden_grid_dims
    .group_segment_fixed_size: 0
    .kernarg_segment_align: 8
    .kernarg_segment_size: 528
    .language:       OpenCL C
    .language_version:
      - 2
      - 0
    .max_flat_workgroup_size: 1024
    .name:           naive_conv_ab_nonpacked_fwd_ndhwc_int8_t_int32_t_float
    .private_segment_fixed_size: 0
    .sgpr_count:     86
    .sgpr_spill_count: 0
    .symbol:         naive_conv_ab_nonpacked_fwd_ndhwc_int8_t_int32_t_float.kd
    .uniform_work_group_size: 1
    .uses_dynamic_stack: false
    .vgpr_count:     27
    .vgpr_spill_count: 0
    .wavefront_size: 32
  - .args:
      - .address_space:  global
        .offset:         0
        .size:           8
        .value_kind:     global_buffer
      - .actual_access:  read_only
        .address_space:  global
        .offset:         8
        .size:           8
        .value_kind:     global_buffer
      - .offset:         16
        .size:           8
        .value_kind:     by_value
      - .offset:         24
        .size:           8
        .value_kind:     by_value
      - .actual_access:  read_only
        .address_space:  global
        .offset:         32
        .size:           8
        .value_kind:     global_buffer
      - .offset:         40
        .size:           48
        .value_kind:     by_value
      - .offset:         88
        .size:           48
        .value_kind:     by_value
      - .offset:         136
        .size:           48
        .value_kind:     by_value
      - .offset:         184
        .size:           4
        .value_kind:     by_value
      - .offset:         188
        .size:           4
        .value_kind:     by_value
      - .offset:         192
        .size:           4
        .value_kind:     by_value
      - .offset:         196
        .size:           4
        .value_kind:     by_value
      - .offset:         200
        .size:           4
        .value_kind:     by_value
      - .offset:         204
        .size:           4
        .value_kind:     by_value
      - .offset:         208
        .size:           4
        .value_kind:     by_value
      - .offset:         212
        .size:           4
        .value_kind:     by_value
      - .offset:         216
        .size:           4
        .value_kind:     by_value
      - .offset:         220
        .size:           4
        .value_kind:     by_value
      - .offset:         224
        .size:           4
        .value_kind:     by_value
      - .offset:         228
        .size:           4
        .value_kind:     by_value
      - .offset:         232
        .size:           4
        .value_kind:     by_value
      - .offset:         236
        .size:           4
        .value_kind:     by_value
      - .offset:         240
        .size:           4
        .value_kind:     by_value
      - .offset:         244
        .size:           4
        .value_kind:     by_value
      - .offset:         248
        .size:           4
        .value_kind:     by_value
      - .offset:         252
        .size:           4
        .value_kind:     by_value
      - .offset:         256
        .size:           4
        .value_kind:     by_value
      - .offset:         260
        .size:           4
        .value_kind:     by_value
      - .offset:         264
        .size:           4
        .value_kind:     by_value
      - .offset:         268
        .size:           4
        .value_kind:     by_value
      - .offset:         272
        .size:           4
        .value_kind:     hidden_block_count_x
      - .offset:         276
        .size:           4
        .value_kind:     hidden_block_count_y
      - .offset:         280
        .size:           4
        .value_kind:     hidden_block_count_z
      - .offset:         284
        .size:           2
        .value_kind:     hidden_group_size_x
      - .offset:         286
        .size:           2
        .value_kind:     hidden_group_size_y
      - .offset:         288
        .size:           2
        .value_kind:     hidden_group_size_z
      - .offset:         290
        .size:           2
        .value_kind:     hidden_remainder_x
      - .offset:         292
        .size:           2
        .value_kind:     hidden_remainder_y
      - .offset:         294
        .size:           2
        .value_kind:     hidden_remainder_z
      - .offset:         312
        .size:           8
        .value_kind:     hidden_global_offset_x
      - .offset:         320
        .size:           8
        .value_kind:     hidden_global_offset_y
      - .offset:         328
        .size:           8
        .value_kind:     hidden_global_offset_z
      - .offset:         336
        .size:           2
        .value_kind:     hidden_grid_dims
    .group_segment_fixed_size: 0
    .kernarg_segment_align: 8
    .kernarg_segment_size: 528
    .language:       OpenCL C
    .language_version:
      - 2
      - 0
    .max_flat_workgroup_size: 1024
    .name:           naive_conv_ab_packed_bwd_ncdhw_float_double_float
    .private_segment_fixed_size: 0
    .sgpr_count:     85
    .sgpr_spill_count: 0
    .symbol:         naive_conv_ab_packed_bwd_ncdhw_float_double_float.kd
    .uniform_work_group_size: 1
    .uses_dynamic_stack: false
    .vgpr_count:     23
    .vgpr_spill_count: 0
    .wavefront_size: 32
  - .args:
      - .address_space:  global
        .offset:         0
        .size:           8
        .value_kind:     global_buffer
      - .actual_access:  read_only
        .address_space:  global
        .offset:         8
        .size:           8
        .value_kind:     global_buffer
      - .offset:         16
        .size:           8
        .value_kind:     by_value
      - .offset:         24
        .size:           8
        .value_kind:     by_value
      - .actual_access:  read_only
        .address_space:  global
        .offset:         32
        .size:           8
        .value_kind:     global_buffer
      - .offset:         40
        .size:           48
        .value_kind:     by_value
      - .offset:         88
        .size:           48
        .value_kind:     by_value
      - .offset:         136
        .size:           48
        .value_kind:     by_value
      - .offset:         184
        .size:           4
        .value_kind:     by_value
      - .offset:         188
        .size:           4
        .value_kind:     by_value
      - .offset:         192
        .size:           4
        .value_kind:     by_value
      - .offset:         196
        .size:           4
        .value_kind:     by_value
      - .offset:         200
        .size:           4
        .value_kind:     by_value
      - .offset:         204
        .size:           4
        .value_kind:     by_value
      - .offset:         208
        .size:           4
        .value_kind:     by_value
      - .offset:         212
        .size:           4
        .value_kind:     by_value
      - .offset:         216
        .size:           4
        .value_kind:     by_value
      - .offset:         220
        .size:           4
        .value_kind:     by_value
      - .offset:         224
        .size:           4
        .value_kind:     by_value
      - .offset:         228
        .size:           4
        .value_kind:     by_value
      - .offset:         232
        .size:           4
        .value_kind:     by_value
      - .offset:         236
        .size:           4
        .value_kind:     by_value
      - .offset:         240
        .size:           4
        .value_kind:     by_value
      - .offset:         244
        .size:           4
        .value_kind:     by_value
      - .offset:         248
        .size:           4
        .value_kind:     by_value
      - .offset:         252
        .size:           4
        .value_kind:     by_value
      - .offset:         256
        .size:           4
        .value_kind:     by_value
      - .offset:         260
        .size:           4
        .value_kind:     by_value
      - .offset:         264
        .size:           4
        .value_kind:     by_value
      - .offset:         268
        .size:           4
        .value_kind:     by_value
      - .offset:         272
        .size:           4
        .value_kind:     hidden_block_count_x
      - .offset:         276
        .size:           4
        .value_kind:     hidden_block_count_y
      - .offset:         280
        .size:           4
        .value_kind:     hidden_block_count_z
      - .offset:         284
        .size:           2
        .value_kind:     hidden_group_size_x
      - .offset:         286
        .size:           2
        .value_kind:     hidden_group_size_y
      - .offset:         288
        .size:           2
        .value_kind:     hidden_group_size_z
      - .offset:         290
        .size:           2
        .value_kind:     hidden_remainder_x
      - .offset:         292
        .size:           2
        .value_kind:     hidden_remainder_y
      - .offset:         294
        .size:           2
        .value_kind:     hidden_remainder_z
      - .offset:         312
        .size:           8
        .value_kind:     hidden_global_offset_x
      - .offset:         320
        .size:           8
        .value_kind:     hidden_global_offset_y
      - .offset:         328
        .size:           8
        .value_kind:     hidden_global_offset_z
      - .offset:         336
        .size:           2
        .value_kind:     hidden_grid_dims
    .group_segment_fixed_size: 0
    .kernarg_segment_align: 8
    .kernarg_segment_size: 528
    .language:       OpenCL C
    .language_version:
      - 2
      - 0
    .max_flat_workgroup_size: 1024
    .name:           naive_conv_ab_nonpacked_bwd_ncdhw_float_double_float
    .private_segment_fixed_size: 0
    .sgpr_count:     97
    .sgpr_spill_count: 0
    .symbol:         naive_conv_ab_nonpacked_bwd_ncdhw_float_double_float.kd
    .uniform_work_group_size: 1
    .uses_dynamic_stack: false
    .vgpr_count:     23
    .vgpr_spill_count: 0
    .wavefront_size: 32
  - .args:
      - .address_space:  global
        .offset:         0
        .size:           8
        .value_kind:     global_buffer
      - .actual_access:  read_only
        .address_space:  global
        .offset:         8
        .size:           8
        .value_kind:     global_buffer
      - .offset:         16
        .size:           8
        .value_kind:     by_value
      - .offset:         24
        .size:           8
        .value_kind:     by_value
      - .actual_access:  read_only
        .address_space:  global
        .offset:         32
        .size:           8
        .value_kind:     global_buffer
      - .offset:         40
        .size:           48
        .value_kind:     by_value
      - .offset:         88
        .size:           48
        .value_kind:     by_value
      - .offset:         136
        .size:           48
        .value_kind:     by_value
      - .offset:         184
        .size:           4
        .value_kind:     by_value
      - .offset:         188
        .size:           4
        .value_kind:     by_value
      - .offset:         192
        .size:           4
        .value_kind:     by_value
      - .offset:         196
        .size:           4
        .value_kind:     by_value
      - .offset:         200
        .size:           4
        .value_kind:     by_value
      - .offset:         204
        .size:           4
        .value_kind:     by_value
      - .offset:         208
        .size:           4
        .value_kind:     by_value
      - .offset:         212
        .size:           4
        .value_kind:     by_value
      - .offset:         216
        .size:           4
        .value_kind:     by_value
      - .offset:         220
        .size:           4
        .value_kind:     by_value
      - .offset:         224
        .size:           4
        .value_kind:     by_value
      - .offset:         228
        .size:           4
        .value_kind:     by_value
      - .offset:         232
        .size:           4
        .value_kind:     by_value
      - .offset:         236
        .size:           4
        .value_kind:     by_value
      - .offset:         240
        .size:           4
        .value_kind:     by_value
      - .offset:         244
        .size:           4
        .value_kind:     by_value
      - .offset:         248
        .size:           4
        .value_kind:     by_value
      - .offset:         252
        .size:           4
        .value_kind:     by_value
      - .offset:         256
        .size:           4
        .value_kind:     by_value
      - .offset:         260
        .size:           4
        .value_kind:     by_value
      - .offset:         264
        .size:           4
        .value_kind:     by_value
      - .offset:         268
        .size:           4
        .value_kind:     by_value
      - .offset:         272
        .size:           4
        .value_kind:     hidden_block_count_x
      - .offset:         276
        .size:           4
        .value_kind:     hidden_block_count_y
      - .offset:         280
        .size:           4
        .value_kind:     hidden_block_count_z
      - .offset:         284
        .size:           2
        .value_kind:     hidden_group_size_x
      - .offset:         286
        .size:           2
        .value_kind:     hidden_group_size_y
      - .offset:         288
        .size:           2
        .value_kind:     hidden_group_size_z
      - .offset:         290
        .size:           2
        .value_kind:     hidden_remainder_x
      - .offset:         292
        .size:           2
        .value_kind:     hidden_remainder_y
      - .offset:         294
        .size:           2
        .value_kind:     hidden_remainder_z
      - .offset:         312
        .size:           8
        .value_kind:     hidden_global_offset_x
      - .offset:         320
        .size:           8
        .value_kind:     hidden_global_offset_y
      - .offset:         328
        .size:           8
        .value_kind:     hidden_global_offset_z
      - .offset:         336
        .size:           2
        .value_kind:     hidden_grid_dims
    .group_segment_fixed_size: 0
    .kernarg_segment_align: 8
    .kernarg_segment_size: 528
    .language:       OpenCL C
    .language_version:
      - 2
      - 0
    .max_flat_workgroup_size: 1024
    .name:           naive_conv_ab_packed_bwd_ncdhw_half_double_half
    .private_segment_fixed_size: 0
    .sgpr_count:     85
    .sgpr_spill_count: 0
    .symbol:         naive_conv_ab_packed_bwd_ncdhw_half_double_half.kd
    .uniform_work_group_size: 1
    .uses_dynamic_stack: false
    .vgpr_count:     24
    .vgpr_spill_count: 0
    .wavefront_size: 32
  - .args:
      - .address_space:  global
        .offset:         0
        .size:           8
        .value_kind:     global_buffer
      - .actual_access:  read_only
        .address_space:  global
        .offset:         8
        .size:           8
        .value_kind:     global_buffer
      - .offset:         16
        .size:           8
        .value_kind:     by_value
      - .offset:         24
        .size:           8
        .value_kind:     by_value
      - .actual_access:  read_only
        .address_space:  global
        .offset:         32
        .size:           8
        .value_kind:     global_buffer
      - .offset:         40
        .size:           48
        .value_kind:     by_value
      - .offset:         88
        .size:           48
        .value_kind:     by_value
      - .offset:         136
        .size:           48
        .value_kind:     by_value
      - .offset:         184
        .size:           4
        .value_kind:     by_value
      - .offset:         188
        .size:           4
        .value_kind:     by_value
      - .offset:         192
        .size:           4
        .value_kind:     by_value
      - .offset:         196
        .size:           4
        .value_kind:     by_value
      - .offset:         200
        .size:           4
        .value_kind:     by_value
      - .offset:         204
        .size:           4
        .value_kind:     by_value
      - .offset:         208
        .size:           4
        .value_kind:     by_value
      - .offset:         212
        .size:           4
        .value_kind:     by_value
      - .offset:         216
        .size:           4
        .value_kind:     by_value
      - .offset:         220
        .size:           4
        .value_kind:     by_value
      - .offset:         224
        .size:           4
        .value_kind:     by_value
      - .offset:         228
        .size:           4
        .value_kind:     by_value
      - .offset:         232
        .size:           4
        .value_kind:     by_value
      - .offset:         236
        .size:           4
        .value_kind:     by_value
      - .offset:         240
        .size:           4
        .value_kind:     by_value
      - .offset:         244
        .size:           4
        .value_kind:     by_value
      - .offset:         248
        .size:           4
        .value_kind:     by_value
      - .offset:         252
        .size:           4
        .value_kind:     by_value
      - .offset:         256
        .size:           4
        .value_kind:     by_value
      - .offset:         260
        .size:           4
        .value_kind:     by_value
      - .offset:         264
        .size:           4
        .value_kind:     by_value
      - .offset:         268
        .size:           4
        .value_kind:     by_value
      - .offset:         272
        .size:           4
        .value_kind:     hidden_block_count_x
      - .offset:         276
        .size:           4
        .value_kind:     hidden_block_count_y
      - .offset:         280
        .size:           4
        .value_kind:     hidden_block_count_z
      - .offset:         284
        .size:           2
        .value_kind:     hidden_group_size_x
      - .offset:         286
        .size:           2
        .value_kind:     hidden_group_size_y
      - .offset:         288
        .size:           2
        .value_kind:     hidden_group_size_z
      - .offset:         290
        .size:           2
        .value_kind:     hidden_remainder_x
      - .offset:         292
        .size:           2
        .value_kind:     hidden_remainder_y
      - .offset:         294
        .size:           2
        .value_kind:     hidden_remainder_z
      - .offset:         312
        .size:           8
        .value_kind:     hidden_global_offset_x
      - .offset:         320
        .size:           8
        .value_kind:     hidden_global_offset_y
      - .offset:         328
        .size:           8
        .value_kind:     hidden_global_offset_z
      - .offset:         336
        .size:           2
        .value_kind:     hidden_grid_dims
    .group_segment_fixed_size: 0
    .kernarg_segment_align: 8
    .kernarg_segment_size: 528
    .language:       OpenCL C
    .language_version:
      - 2
      - 0
    .max_flat_workgroup_size: 1024
    .name:           naive_conv_ab_nonpacked_bwd_ncdhw_half_double_half
    .private_segment_fixed_size: 0
    .sgpr_count:     97
    .sgpr_spill_count: 0
    .symbol:         naive_conv_ab_nonpacked_bwd_ncdhw_half_double_half.kd
    .uniform_work_group_size: 1
    .uses_dynamic_stack: false
    .vgpr_count:     24
    .vgpr_spill_count: 0
    .wavefront_size: 32
  - .args:
      - .address_space:  global
        .offset:         0
        .size:           8
        .value_kind:     global_buffer
      - .actual_access:  read_only
        .address_space:  global
        .offset:         8
        .size:           8
        .value_kind:     global_buffer
      - .offset:         16
        .size:           8
        .value_kind:     by_value
      - .offset:         24
        .size:           8
        .value_kind:     by_value
      - .actual_access:  read_only
        .address_space:  global
        .offset:         32
        .size:           8
        .value_kind:     global_buffer
      - .offset:         40
        .size:           48
        .value_kind:     by_value
      - .offset:         88
        .size:           48
        .value_kind:     by_value
      - .offset:         136
        .size:           48
        .value_kind:     by_value
      - .offset:         184
        .size:           4
        .value_kind:     by_value
      - .offset:         188
        .size:           4
        .value_kind:     by_value
      - .offset:         192
        .size:           4
        .value_kind:     by_value
      - .offset:         196
        .size:           4
        .value_kind:     by_value
      - .offset:         200
        .size:           4
        .value_kind:     by_value
      - .offset:         204
        .size:           4
        .value_kind:     by_value
      - .offset:         208
        .size:           4
        .value_kind:     by_value
      - .offset:         212
        .size:           4
        .value_kind:     by_value
      - .offset:         216
        .size:           4
        .value_kind:     by_value
      - .offset:         220
        .size:           4
        .value_kind:     by_value
      - .offset:         224
        .size:           4
        .value_kind:     by_value
      - .offset:         228
        .size:           4
        .value_kind:     by_value
      - .offset:         232
        .size:           4
        .value_kind:     by_value
      - .offset:         236
        .size:           4
        .value_kind:     by_value
      - .offset:         240
        .size:           4
        .value_kind:     by_value
      - .offset:         244
        .size:           4
        .value_kind:     by_value
      - .offset:         248
        .size:           4
        .value_kind:     by_value
      - .offset:         252
        .size:           4
        .value_kind:     by_value
      - .offset:         256
        .size:           4
        .value_kind:     by_value
      - .offset:         260
        .size:           4
        .value_kind:     by_value
      - .offset:         264
        .size:           4
        .value_kind:     by_value
      - .offset:         268
        .size:           4
        .value_kind:     by_value
      - .offset:         272
        .size:           4
        .value_kind:     hidden_block_count_x
      - .offset:         276
        .size:           4
        .value_kind:     hidden_block_count_y
      - .offset:         280
        .size:           4
        .value_kind:     hidden_block_count_z
      - .offset:         284
        .size:           2
        .value_kind:     hidden_group_size_x
      - .offset:         286
        .size:           2
        .value_kind:     hidden_group_size_y
      - .offset:         288
        .size:           2
        .value_kind:     hidden_group_size_z
      - .offset:         290
        .size:           2
        .value_kind:     hidden_remainder_x
      - .offset:         292
        .size:           2
        .value_kind:     hidden_remainder_y
      - .offset:         294
        .size:           2
        .value_kind:     hidden_remainder_z
      - .offset:         312
        .size:           8
        .value_kind:     hidden_global_offset_x
      - .offset:         320
        .size:           8
        .value_kind:     hidden_global_offset_y
      - .offset:         328
        .size:           8
        .value_kind:     hidden_global_offset_z
      - .offset:         336
        .size:           2
        .value_kind:     hidden_grid_dims
    .group_segment_fixed_size: 0
    .kernarg_segment_align: 8
    .kernarg_segment_size: 528
    .language:       OpenCL C
    .language_version:
      - 2
      - 0
    .max_flat_workgroup_size: 1024
    .name:           naive_conv_ab_packed_bwd_ncdhw_ushort_double_ushort
    .private_segment_fixed_size: 0
    .sgpr_count:     85
    .sgpr_spill_count: 0
    .symbol:         naive_conv_ab_packed_bwd_ncdhw_ushort_double_ushort.kd
    .uniform_work_group_size: 1
    .uses_dynamic_stack: false
    .vgpr_count:     23
    .vgpr_spill_count: 0
    .wavefront_size: 32
  - .args:
      - .address_space:  global
        .offset:         0
        .size:           8
        .value_kind:     global_buffer
      - .actual_access:  read_only
        .address_space:  global
        .offset:         8
        .size:           8
        .value_kind:     global_buffer
      - .offset:         16
        .size:           8
        .value_kind:     by_value
      - .offset:         24
        .size:           8
        .value_kind:     by_value
      - .actual_access:  read_only
        .address_space:  global
        .offset:         32
        .size:           8
        .value_kind:     global_buffer
      - .offset:         40
        .size:           48
        .value_kind:     by_value
      - .offset:         88
        .size:           48
        .value_kind:     by_value
      - .offset:         136
        .size:           48
        .value_kind:     by_value
      - .offset:         184
        .size:           4
        .value_kind:     by_value
      - .offset:         188
        .size:           4
        .value_kind:     by_value
      - .offset:         192
        .size:           4
        .value_kind:     by_value
      - .offset:         196
        .size:           4
        .value_kind:     by_value
      - .offset:         200
        .size:           4
        .value_kind:     by_value
      - .offset:         204
        .size:           4
        .value_kind:     by_value
      - .offset:         208
        .size:           4
        .value_kind:     by_value
      - .offset:         212
        .size:           4
        .value_kind:     by_value
      - .offset:         216
        .size:           4
        .value_kind:     by_value
      - .offset:         220
        .size:           4
        .value_kind:     by_value
      - .offset:         224
        .size:           4
        .value_kind:     by_value
      - .offset:         228
        .size:           4
        .value_kind:     by_value
      - .offset:         232
        .size:           4
        .value_kind:     by_value
      - .offset:         236
        .size:           4
        .value_kind:     by_value
      - .offset:         240
        .size:           4
        .value_kind:     by_value
      - .offset:         244
        .size:           4
        .value_kind:     by_value
      - .offset:         248
        .size:           4
        .value_kind:     by_value
      - .offset:         252
        .size:           4
        .value_kind:     by_value
      - .offset:         256
        .size:           4
        .value_kind:     by_value
      - .offset:         260
        .size:           4
        .value_kind:     by_value
      - .offset:         264
        .size:           4
        .value_kind:     by_value
      - .offset:         268
        .size:           4
        .value_kind:     by_value
      - .offset:         272
        .size:           4
        .value_kind:     hidden_block_count_x
      - .offset:         276
        .size:           4
        .value_kind:     hidden_block_count_y
      - .offset:         280
        .size:           4
        .value_kind:     hidden_block_count_z
      - .offset:         284
        .size:           2
        .value_kind:     hidden_group_size_x
      - .offset:         286
        .size:           2
        .value_kind:     hidden_group_size_y
      - .offset:         288
        .size:           2
        .value_kind:     hidden_group_size_z
      - .offset:         290
        .size:           2
        .value_kind:     hidden_remainder_x
      - .offset:         292
        .size:           2
        .value_kind:     hidden_remainder_y
      - .offset:         294
        .size:           2
        .value_kind:     hidden_remainder_z
      - .offset:         312
        .size:           8
        .value_kind:     hidden_global_offset_x
      - .offset:         320
        .size:           8
        .value_kind:     hidden_global_offset_y
      - .offset:         328
        .size:           8
        .value_kind:     hidden_global_offset_z
      - .offset:         336
        .size:           2
        .value_kind:     hidden_grid_dims
    .group_segment_fixed_size: 0
    .kernarg_segment_align: 8
    .kernarg_segment_size: 528
    .language:       OpenCL C
    .language_version:
      - 2
      - 0
    .max_flat_workgroup_size: 1024
    .name:           naive_conv_ab_nonpacked_bwd_ncdhw_ushort_double_ushort
    .private_segment_fixed_size: 0
    .sgpr_count:     97
    .sgpr_spill_count: 0
    .symbol:         naive_conv_ab_nonpacked_bwd_ncdhw_ushort_double_ushort.kd
    .uniform_work_group_size: 1
    .uses_dynamic_stack: false
    .vgpr_count:     23
    .vgpr_spill_count: 0
    .wavefront_size: 32
  - .args:
      - .address_space:  global
        .offset:         0
        .size:           8
        .value_kind:     global_buffer
      - .actual_access:  read_only
        .address_space:  global
        .offset:         8
        .size:           8
        .value_kind:     global_buffer
      - .offset:         16
        .size:           8
        .value_kind:     by_value
      - .offset:         24
        .size:           8
        .value_kind:     by_value
      - .actual_access:  read_only
        .address_space:  global
        .offset:         32
        .size:           8
        .value_kind:     global_buffer
      - .offset:         40
        .size:           48
        .value_kind:     by_value
      - .offset:         88
        .size:           48
        .value_kind:     by_value
      - .offset:         136
        .size:           48
        .value_kind:     by_value
      - .offset:         184
        .size:           4
        .value_kind:     by_value
      - .offset:         188
        .size:           4
        .value_kind:     by_value
      - .offset:         192
        .size:           4
        .value_kind:     by_value
      - .offset:         196
        .size:           4
        .value_kind:     by_value
      - .offset:         200
        .size:           4
        .value_kind:     by_value
      - .offset:         204
        .size:           4
        .value_kind:     by_value
      - .offset:         208
        .size:           4
        .value_kind:     by_value
      - .offset:         212
        .size:           4
        .value_kind:     by_value
      - .offset:         216
        .size:           4
        .value_kind:     by_value
      - .offset:         220
        .size:           4
        .value_kind:     by_value
      - .offset:         224
        .size:           4
        .value_kind:     by_value
      - .offset:         228
        .size:           4
        .value_kind:     by_value
      - .offset:         232
        .size:           4
        .value_kind:     by_value
      - .offset:         236
        .size:           4
        .value_kind:     by_value
      - .offset:         240
        .size:           4
        .value_kind:     by_value
      - .offset:         244
        .size:           4
        .value_kind:     by_value
      - .offset:         248
        .size:           4
        .value_kind:     by_value
      - .offset:         252
        .size:           4
        .value_kind:     by_value
      - .offset:         256
        .size:           4
        .value_kind:     by_value
      - .offset:         260
        .size:           4
        .value_kind:     by_value
      - .offset:         264
        .size:           4
        .value_kind:     by_value
      - .offset:         268
        .size:           4
        .value_kind:     by_value
      - .offset:         272
        .size:           4
        .value_kind:     hidden_block_count_x
      - .offset:         276
        .size:           4
        .value_kind:     hidden_block_count_y
      - .offset:         280
        .size:           4
        .value_kind:     hidden_block_count_z
      - .offset:         284
        .size:           2
        .value_kind:     hidden_group_size_x
      - .offset:         286
        .size:           2
        .value_kind:     hidden_group_size_y
      - .offset:         288
        .size:           2
        .value_kind:     hidden_group_size_z
      - .offset:         290
        .size:           2
        .value_kind:     hidden_remainder_x
      - .offset:         292
        .size:           2
        .value_kind:     hidden_remainder_y
      - .offset:         294
        .size:           2
        .value_kind:     hidden_remainder_z
      - .offset:         312
        .size:           8
        .value_kind:     hidden_global_offset_x
      - .offset:         320
        .size:           8
        .value_kind:     hidden_global_offset_y
      - .offset:         328
        .size:           8
        .value_kind:     hidden_global_offset_z
      - .offset:         336
        .size:           2
        .value_kind:     hidden_grid_dims
    .group_segment_fixed_size: 0
    .kernarg_segment_align: 8
    .kernarg_segment_size: 528
    .language:       OpenCL C
    .language_version:
      - 2
      - 0
    .max_flat_workgroup_size: 1024
    .name:           naive_conv_ab_packed_bwd_ndhwc_float_double_float
    .private_segment_fixed_size: 0
    .sgpr_count:     85
    .sgpr_spill_count: 0
    .symbol:         naive_conv_ab_packed_bwd_ndhwc_float_double_float.kd
    .uniform_work_group_size: 1
    .uses_dynamic_stack: false
    .vgpr_count:     28
    .vgpr_spill_count: 0
    .wavefront_size: 32
  - .args:
      - .address_space:  global
        .offset:         0
        .size:           8
        .value_kind:     global_buffer
      - .actual_access:  read_only
        .address_space:  global
        .offset:         8
        .size:           8
        .value_kind:     global_buffer
      - .offset:         16
        .size:           8
        .value_kind:     by_value
      - .offset:         24
        .size:           8
        .value_kind:     by_value
      - .actual_access:  read_only
        .address_space:  global
        .offset:         32
        .size:           8
        .value_kind:     global_buffer
      - .offset:         40
        .size:           48
        .value_kind:     by_value
      - .offset:         88
        .size:           48
        .value_kind:     by_value
      - .offset:         136
        .size:           48
        .value_kind:     by_value
      - .offset:         184
        .size:           4
        .value_kind:     by_value
      - .offset:         188
        .size:           4
        .value_kind:     by_value
      - .offset:         192
        .size:           4
        .value_kind:     by_value
      - .offset:         196
        .size:           4
        .value_kind:     by_value
      - .offset:         200
        .size:           4
        .value_kind:     by_value
      - .offset:         204
        .size:           4
        .value_kind:     by_value
      - .offset:         208
        .size:           4
        .value_kind:     by_value
      - .offset:         212
        .size:           4
        .value_kind:     by_value
      - .offset:         216
        .size:           4
        .value_kind:     by_value
      - .offset:         220
        .size:           4
        .value_kind:     by_value
      - .offset:         224
        .size:           4
        .value_kind:     by_value
      - .offset:         228
        .size:           4
        .value_kind:     by_value
      - .offset:         232
        .size:           4
        .value_kind:     by_value
      - .offset:         236
        .size:           4
        .value_kind:     by_value
      - .offset:         240
        .size:           4
        .value_kind:     by_value
      - .offset:         244
        .size:           4
        .value_kind:     by_value
      - .offset:         248
        .size:           4
        .value_kind:     by_value
      - .offset:         252
        .size:           4
        .value_kind:     by_value
      - .offset:         256
        .size:           4
        .value_kind:     by_value
      - .offset:         260
        .size:           4
        .value_kind:     by_value
      - .offset:         264
        .size:           4
        .value_kind:     by_value
      - .offset:         268
        .size:           4
        .value_kind:     by_value
      - .offset:         272
        .size:           4
        .value_kind:     hidden_block_count_x
      - .offset:         276
        .size:           4
        .value_kind:     hidden_block_count_y
      - .offset:         280
        .size:           4
        .value_kind:     hidden_block_count_z
      - .offset:         284
        .size:           2
        .value_kind:     hidden_group_size_x
      - .offset:         286
        .size:           2
        .value_kind:     hidden_group_size_y
      - .offset:         288
        .size:           2
        .value_kind:     hidden_group_size_z
      - .offset:         290
        .size:           2
        .value_kind:     hidden_remainder_x
      - .offset:         292
        .size:           2
        .value_kind:     hidden_remainder_y
      - .offset:         294
        .size:           2
        .value_kind:     hidden_remainder_z
      - .offset:         312
        .size:           8
        .value_kind:     hidden_global_offset_x
      - .offset:         320
        .size:           8
        .value_kind:     hidden_global_offset_y
      - .offset:         328
        .size:           8
        .value_kind:     hidden_global_offset_z
      - .offset:         336
        .size:           2
        .value_kind:     hidden_grid_dims
    .group_segment_fixed_size: 0
    .kernarg_segment_align: 8
    .kernarg_segment_size: 528
    .language:       OpenCL C
    .language_version:
      - 2
      - 0
    .max_flat_workgroup_size: 1024
    .name:           naive_conv_ab_nonpacked_bwd_ndhwc_float_double_float
    .private_segment_fixed_size: 0
    .sgpr_count:     92
    .sgpr_spill_count: 0
    .symbol:         naive_conv_ab_nonpacked_bwd_ndhwc_float_double_float.kd
    .uniform_work_group_size: 1
    .uses_dynamic_stack: false
    .vgpr_count:     28
    .vgpr_spill_count: 0
    .wavefront_size: 32
  - .args:
      - .address_space:  global
        .offset:         0
        .size:           8
        .value_kind:     global_buffer
      - .actual_access:  read_only
        .address_space:  global
        .offset:         8
        .size:           8
        .value_kind:     global_buffer
      - .offset:         16
        .size:           8
        .value_kind:     by_value
      - .offset:         24
        .size:           8
        .value_kind:     by_value
      - .actual_access:  read_only
        .address_space:  global
        .offset:         32
        .size:           8
        .value_kind:     global_buffer
      - .offset:         40
        .size:           48
        .value_kind:     by_value
      - .offset:         88
        .size:           48
        .value_kind:     by_value
      - .offset:         136
        .size:           48
        .value_kind:     by_value
      - .offset:         184
        .size:           4
        .value_kind:     by_value
      - .offset:         188
        .size:           4
        .value_kind:     by_value
      - .offset:         192
        .size:           4
        .value_kind:     by_value
      - .offset:         196
        .size:           4
        .value_kind:     by_value
      - .offset:         200
        .size:           4
        .value_kind:     by_value
      - .offset:         204
        .size:           4
        .value_kind:     by_value
      - .offset:         208
        .size:           4
        .value_kind:     by_value
      - .offset:         212
        .size:           4
        .value_kind:     by_value
      - .offset:         216
        .size:           4
        .value_kind:     by_value
      - .offset:         220
        .size:           4
        .value_kind:     by_value
      - .offset:         224
        .size:           4
        .value_kind:     by_value
      - .offset:         228
        .size:           4
        .value_kind:     by_value
      - .offset:         232
        .size:           4
        .value_kind:     by_value
      - .offset:         236
        .size:           4
        .value_kind:     by_value
      - .offset:         240
        .size:           4
        .value_kind:     by_value
      - .offset:         244
        .size:           4
        .value_kind:     by_value
      - .offset:         248
        .size:           4
        .value_kind:     by_value
      - .offset:         252
        .size:           4
        .value_kind:     by_value
      - .offset:         256
        .size:           4
        .value_kind:     by_value
      - .offset:         260
        .size:           4
        .value_kind:     by_value
      - .offset:         264
        .size:           4
        .value_kind:     by_value
      - .offset:         268
        .size:           4
        .value_kind:     by_value
      - .offset:         272
        .size:           4
        .value_kind:     hidden_block_count_x
      - .offset:         276
        .size:           4
        .value_kind:     hidden_block_count_y
      - .offset:         280
        .size:           4
        .value_kind:     hidden_block_count_z
      - .offset:         284
        .size:           2
        .value_kind:     hidden_group_size_x
      - .offset:         286
        .size:           2
        .value_kind:     hidden_group_size_y
      - .offset:         288
        .size:           2
        .value_kind:     hidden_group_size_z
      - .offset:         290
        .size:           2
        .value_kind:     hidden_remainder_x
      - .offset:         292
        .size:           2
        .value_kind:     hidden_remainder_y
      - .offset:         294
        .size:           2
        .value_kind:     hidden_remainder_z
      - .offset:         312
        .size:           8
        .value_kind:     hidden_global_offset_x
      - .offset:         320
        .size:           8
        .value_kind:     hidden_global_offset_y
      - .offset:         328
        .size:           8
        .value_kind:     hidden_global_offset_z
      - .offset:         336
        .size:           2
        .value_kind:     hidden_grid_dims
    .group_segment_fixed_size: 0
    .kernarg_segment_align: 8
    .kernarg_segment_size: 528
    .language:       OpenCL C
    .language_version:
      - 2
      - 0
    .max_flat_workgroup_size: 1024
    .name:           naive_conv_ab_packed_bwd_ndhwc_half_double_half
    .private_segment_fixed_size: 0
    .sgpr_count:     85
    .sgpr_spill_count: 0
    .symbol:         naive_conv_ab_packed_bwd_ndhwc_half_double_half.kd
    .uniform_work_group_size: 1
    .uses_dynamic_stack: false
    .vgpr_count:     30
    .vgpr_spill_count: 0
    .wavefront_size: 32
  - .args:
      - .address_space:  global
        .offset:         0
        .size:           8
        .value_kind:     global_buffer
      - .actual_access:  read_only
        .address_space:  global
        .offset:         8
        .size:           8
        .value_kind:     global_buffer
      - .offset:         16
        .size:           8
        .value_kind:     by_value
      - .offset:         24
        .size:           8
        .value_kind:     by_value
      - .actual_access:  read_only
        .address_space:  global
        .offset:         32
        .size:           8
        .value_kind:     global_buffer
      - .offset:         40
        .size:           48
        .value_kind:     by_value
      - .offset:         88
        .size:           48
        .value_kind:     by_value
      - .offset:         136
        .size:           48
        .value_kind:     by_value
      - .offset:         184
        .size:           4
        .value_kind:     by_value
      - .offset:         188
        .size:           4
        .value_kind:     by_value
      - .offset:         192
        .size:           4
        .value_kind:     by_value
      - .offset:         196
        .size:           4
        .value_kind:     by_value
      - .offset:         200
        .size:           4
        .value_kind:     by_value
      - .offset:         204
        .size:           4
        .value_kind:     by_value
      - .offset:         208
        .size:           4
        .value_kind:     by_value
      - .offset:         212
        .size:           4
        .value_kind:     by_value
      - .offset:         216
        .size:           4
        .value_kind:     by_value
      - .offset:         220
        .size:           4
        .value_kind:     by_value
      - .offset:         224
        .size:           4
        .value_kind:     by_value
      - .offset:         228
        .size:           4
        .value_kind:     by_value
      - .offset:         232
        .size:           4
        .value_kind:     by_value
      - .offset:         236
        .size:           4
        .value_kind:     by_value
      - .offset:         240
        .size:           4
        .value_kind:     by_value
      - .offset:         244
        .size:           4
        .value_kind:     by_value
      - .offset:         248
        .size:           4
        .value_kind:     by_value
      - .offset:         252
        .size:           4
        .value_kind:     by_value
      - .offset:         256
        .size:           4
        .value_kind:     by_value
      - .offset:         260
        .size:           4
        .value_kind:     by_value
      - .offset:         264
        .size:           4
        .value_kind:     by_value
      - .offset:         268
        .size:           4
        .value_kind:     by_value
      - .offset:         272
        .size:           4
        .value_kind:     hidden_block_count_x
      - .offset:         276
        .size:           4
        .value_kind:     hidden_block_count_y
      - .offset:         280
        .size:           4
        .value_kind:     hidden_block_count_z
      - .offset:         284
        .size:           2
        .value_kind:     hidden_group_size_x
      - .offset:         286
        .size:           2
        .value_kind:     hidden_group_size_y
      - .offset:         288
        .size:           2
        .value_kind:     hidden_group_size_z
      - .offset:         290
        .size:           2
        .value_kind:     hidden_remainder_x
      - .offset:         292
        .size:           2
        .value_kind:     hidden_remainder_y
      - .offset:         294
        .size:           2
        .value_kind:     hidden_remainder_z
      - .offset:         312
        .size:           8
        .value_kind:     hidden_global_offset_x
      - .offset:         320
        .size:           8
        .value_kind:     hidden_global_offset_y
      - .offset:         328
        .size:           8
        .value_kind:     hidden_global_offset_z
      - .offset:         336
        .size:           2
        .value_kind:     hidden_grid_dims
    .group_segment_fixed_size: 0
    .kernarg_segment_align: 8
    .kernarg_segment_size: 528
    .language:       OpenCL C
    .language_version:
      - 2
      - 0
    .max_flat_workgroup_size: 1024
    .name:           naive_conv_ab_nonpacked_bwd_ndhwc_half_double_half
    .private_segment_fixed_size: 0
    .sgpr_count:     92
    .sgpr_spill_count: 0
    .symbol:         naive_conv_ab_nonpacked_bwd_ndhwc_half_double_half.kd
    .uniform_work_group_size: 1
    .uses_dynamic_stack: false
    .vgpr_count:     30
    .vgpr_spill_count: 0
    .wavefront_size: 32
  - .args:
      - .address_space:  global
        .offset:         0
        .size:           8
        .value_kind:     global_buffer
      - .actual_access:  read_only
        .address_space:  global
        .offset:         8
        .size:           8
        .value_kind:     global_buffer
      - .offset:         16
        .size:           8
        .value_kind:     by_value
      - .offset:         24
        .size:           8
        .value_kind:     by_value
      - .actual_access:  read_only
        .address_space:  global
        .offset:         32
        .size:           8
        .value_kind:     global_buffer
      - .offset:         40
        .size:           48
        .value_kind:     by_value
      - .offset:         88
        .size:           48
        .value_kind:     by_value
      - .offset:         136
        .size:           48
        .value_kind:     by_value
      - .offset:         184
        .size:           4
        .value_kind:     by_value
      - .offset:         188
        .size:           4
        .value_kind:     by_value
      - .offset:         192
        .size:           4
        .value_kind:     by_value
      - .offset:         196
        .size:           4
        .value_kind:     by_value
      - .offset:         200
        .size:           4
        .value_kind:     by_value
      - .offset:         204
        .size:           4
        .value_kind:     by_value
      - .offset:         208
        .size:           4
        .value_kind:     by_value
      - .offset:         212
        .size:           4
        .value_kind:     by_value
      - .offset:         216
        .size:           4
        .value_kind:     by_value
      - .offset:         220
        .size:           4
        .value_kind:     by_value
      - .offset:         224
        .size:           4
        .value_kind:     by_value
      - .offset:         228
        .size:           4
        .value_kind:     by_value
      - .offset:         232
        .size:           4
        .value_kind:     by_value
      - .offset:         236
        .size:           4
        .value_kind:     by_value
      - .offset:         240
        .size:           4
        .value_kind:     by_value
      - .offset:         244
        .size:           4
        .value_kind:     by_value
      - .offset:         248
        .size:           4
        .value_kind:     by_value
      - .offset:         252
        .size:           4
        .value_kind:     by_value
      - .offset:         256
        .size:           4
        .value_kind:     by_value
      - .offset:         260
        .size:           4
        .value_kind:     by_value
      - .offset:         264
        .size:           4
        .value_kind:     by_value
      - .offset:         268
        .size:           4
        .value_kind:     by_value
      - .offset:         272
        .size:           4
        .value_kind:     hidden_block_count_x
      - .offset:         276
        .size:           4
        .value_kind:     hidden_block_count_y
      - .offset:         280
        .size:           4
        .value_kind:     hidden_block_count_z
      - .offset:         284
        .size:           2
        .value_kind:     hidden_group_size_x
      - .offset:         286
        .size:           2
        .value_kind:     hidden_group_size_y
      - .offset:         288
        .size:           2
        .value_kind:     hidden_group_size_z
      - .offset:         290
        .size:           2
        .value_kind:     hidden_remainder_x
      - .offset:         292
        .size:           2
        .value_kind:     hidden_remainder_y
      - .offset:         294
        .size:           2
        .value_kind:     hidden_remainder_z
      - .offset:         312
        .size:           8
        .value_kind:     hidden_global_offset_x
      - .offset:         320
        .size:           8
        .value_kind:     hidden_global_offset_y
      - .offset:         328
        .size:           8
        .value_kind:     hidden_global_offset_z
      - .offset:         336
        .size:           2
        .value_kind:     hidden_grid_dims
    .group_segment_fixed_size: 0
    .kernarg_segment_align: 8
    .kernarg_segment_size: 528
    .language:       OpenCL C
    .language_version:
      - 2
      - 0
    .max_flat_workgroup_size: 1024
    .name:           naive_conv_ab_packed_bwd_ndhwc_ushort_double_ushort
    .private_segment_fixed_size: 0
    .sgpr_count:     85
    .sgpr_spill_count: 0
    .symbol:         naive_conv_ab_packed_bwd_ndhwc_ushort_double_ushort.kd
    .uniform_work_group_size: 1
    .uses_dynamic_stack: false
    .vgpr_count:     28
    .vgpr_spill_count: 0
    .wavefront_size: 32
  - .args:
      - .address_space:  global
        .offset:         0
        .size:           8
        .value_kind:     global_buffer
      - .actual_access:  read_only
        .address_space:  global
        .offset:         8
        .size:           8
        .value_kind:     global_buffer
      - .offset:         16
        .size:           8
        .value_kind:     by_value
      - .offset:         24
        .size:           8
        .value_kind:     by_value
      - .actual_access:  read_only
        .address_space:  global
        .offset:         32
        .size:           8
        .value_kind:     global_buffer
      - .offset:         40
        .size:           48
        .value_kind:     by_value
      - .offset:         88
        .size:           48
        .value_kind:     by_value
      - .offset:         136
        .size:           48
        .value_kind:     by_value
      - .offset:         184
        .size:           4
        .value_kind:     by_value
      - .offset:         188
        .size:           4
        .value_kind:     by_value
      - .offset:         192
        .size:           4
        .value_kind:     by_value
      - .offset:         196
        .size:           4
        .value_kind:     by_value
      - .offset:         200
        .size:           4
        .value_kind:     by_value
      - .offset:         204
        .size:           4
        .value_kind:     by_value
      - .offset:         208
        .size:           4
        .value_kind:     by_value
      - .offset:         212
        .size:           4
        .value_kind:     by_value
      - .offset:         216
        .size:           4
        .value_kind:     by_value
      - .offset:         220
        .size:           4
        .value_kind:     by_value
      - .offset:         224
        .size:           4
        .value_kind:     by_value
      - .offset:         228
        .size:           4
        .value_kind:     by_value
      - .offset:         232
        .size:           4
        .value_kind:     by_value
      - .offset:         236
        .size:           4
        .value_kind:     by_value
      - .offset:         240
        .size:           4
        .value_kind:     by_value
      - .offset:         244
        .size:           4
        .value_kind:     by_value
      - .offset:         248
        .size:           4
        .value_kind:     by_value
      - .offset:         252
        .size:           4
        .value_kind:     by_value
      - .offset:         256
        .size:           4
        .value_kind:     by_value
      - .offset:         260
        .size:           4
        .value_kind:     by_value
      - .offset:         264
        .size:           4
        .value_kind:     by_value
      - .offset:         268
        .size:           4
        .value_kind:     by_value
      - .offset:         272
        .size:           4
        .value_kind:     hidden_block_count_x
      - .offset:         276
        .size:           4
        .value_kind:     hidden_block_count_y
      - .offset:         280
        .size:           4
        .value_kind:     hidden_block_count_z
      - .offset:         284
        .size:           2
        .value_kind:     hidden_group_size_x
      - .offset:         286
        .size:           2
        .value_kind:     hidden_group_size_y
      - .offset:         288
        .size:           2
        .value_kind:     hidden_group_size_z
      - .offset:         290
        .size:           2
        .value_kind:     hidden_remainder_x
      - .offset:         292
        .size:           2
        .value_kind:     hidden_remainder_y
      - .offset:         294
        .size:           2
        .value_kind:     hidden_remainder_z
      - .offset:         312
        .size:           8
        .value_kind:     hidden_global_offset_x
      - .offset:         320
        .size:           8
        .value_kind:     hidden_global_offset_y
      - .offset:         328
        .size:           8
        .value_kind:     hidden_global_offset_z
      - .offset:         336
        .size:           2
        .value_kind:     hidden_grid_dims
    .group_segment_fixed_size: 0
    .kernarg_segment_align: 8
    .kernarg_segment_size: 528
    .language:       OpenCL C
    .language_version:
      - 2
      - 0
    .max_flat_workgroup_size: 1024
    .name:           naive_conv_ab_nonpacked_bwd_ndhwc_ushort_double_ushort
    .private_segment_fixed_size: 0
    .sgpr_count:     92
    .sgpr_spill_count: 0
    .symbol:         naive_conv_ab_nonpacked_bwd_ndhwc_ushort_double_ushort.kd
    .uniform_work_group_size: 1
    .uses_dynamic_stack: false
    .vgpr_count:     28
    .vgpr_spill_count: 0
    .wavefront_size: 32
  - .args:
      - .actual_access:  read_only
        .address_space:  global
        .offset:         0
        .size:           8
        .value_kind:     global_buffer
      - .address_space:  global
        .offset:         8
        .size:           8
        .value_kind:     global_buffer
      - .offset:         16
        .size:           8
        .value_kind:     by_value
      - .offset:         24
        .size:           8
        .value_kind:     by_value
      - .actual_access:  read_only
        .address_space:  global
        .offset:         32
        .size:           8
        .value_kind:     global_buffer
      - .offset:         40
        .size:           48
        .value_kind:     by_value
      - .offset:         88
        .size:           48
        .value_kind:     by_value
      - .offset:         136
        .size:           48
        .value_kind:     by_value
      - .offset:         184
        .size:           4
        .value_kind:     by_value
      - .offset:         188
        .size:           4
        .value_kind:     by_value
      - .offset:         192
        .size:           4
        .value_kind:     by_value
      - .offset:         196
        .size:           4
        .value_kind:     by_value
      - .offset:         200
        .size:           4
        .value_kind:     by_value
      - .offset:         204
        .size:           4
        .value_kind:     by_value
      - .offset:         208
        .size:           4
        .value_kind:     by_value
      - .offset:         212
        .size:           4
        .value_kind:     by_value
      - .offset:         216
        .size:           4
        .value_kind:     by_value
      - .offset:         220
        .size:           4
        .value_kind:     by_value
      - .offset:         224
        .size:           4
        .value_kind:     by_value
      - .offset:         228
        .size:           4
        .value_kind:     by_value
      - .offset:         232
        .size:           4
        .value_kind:     by_value
      - .offset:         236
        .size:           4
        .value_kind:     by_value
      - .offset:         240
        .size:           4
        .value_kind:     by_value
      - .offset:         244
        .size:           4
        .value_kind:     by_value
      - .offset:         248
        .size:           4
        .value_kind:     by_value
      - .offset:         252
        .size:           4
        .value_kind:     by_value
      - .offset:         256
        .size:           4
        .value_kind:     by_value
      - .offset:         260
        .size:           4
        .value_kind:     by_value
      - .offset:         264
        .size:           4
        .value_kind:     by_value
      - .offset:         268
        .size:           4
        .value_kind:     by_value
      - .offset:         272
        .size:           4
        .value_kind:     hidden_block_count_x
      - .offset:         276
        .size:           4
        .value_kind:     hidden_block_count_y
      - .offset:         280
        .size:           4
        .value_kind:     hidden_block_count_z
      - .offset:         284
        .size:           2
        .value_kind:     hidden_group_size_x
      - .offset:         286
        .size:           2
        .value_kind:     hidden_group_size_y
      - .offset:         288
        .size:           2
        .value_kind:     hidden_group_size_z
      - .offset:         290
        .size:           2
        .value_kind:     hidden_remainder_x
      - .offset:         292
        .size:           2
        .value_kind:     hidden_remainder_y
      - .offset:         294
        .size:           2
        .value_kind:     hidden_remainder_z
      - .offset:         312
        .size:           8
        .value_kind:     hidden_global_offset_x
      - .offset:         320
        .size:           8
        .value_kind:     hidden_global_offset_y
      - .offset:         328
        .size:           8
        .value_kind:     hidden_global_offset_z
      - .offset:         336
        .size:           2
        .value_kind:     hidden_grid_dims
    .group_segment_fixed_size: 0
    .kernarg_segment_align: 8
    .kernarg_segment_size: 528
    .language:       OpenCL C
    .language_version:
      - 2
      - 0
    .max_flat_workgroup_size: 1024
    .name:           naive_conv_ab_packed_wrw_ncdhw_float_double_float
    .private_segment_fixed_size: 0
    .sgpr_count:     87
    .sgpr_spill_count: 0
    .symbol:         naive_conv_ab_packed_wrw_ncdhw_float_double_float.kd
    .uniform_work_group_size: 1
    .uses_dynamic_stack: false
    .vgpr_count:     24
    .vgpr_spill_count: 0
    .wavefront_size: 32
  - .args:
      - .actual_access:  read_only
        .address_space:  global
        .offset:         0
        .size:           8
        .value_kind:     global_buffer
      - .address_space:  global
        .offset:         8
        .size:           8
        .value_kind:     global_buffer
      - .offset:         16
        .size:           8
        .value_kind:     by_value
      - .offset:         24
        .size:           8
        .value_kind:     by_value
      - .actual_access:  read_only
        .address_space:  global
        .offset:         32
        .size:           8
        .value_kind:     global_buffer
      - .offset:         40
        .size:           48
        .value_kind:     by_value
      - .offset:         88
        .size:           48
        .value_kind:     by_value
      - .offset:         136
        .size:           48
        .value_kind:     by_value
      - .offset:         184
        .size:           4
        .value_kind:     by_value
      - .offset:         188
        .size:           4
        .value_kind:     by_value
      - .offset:         192
        .size:           4
        .value_kind:     by_value
      - .offset:         196
        .size:           4
        .value_kind:     by_value
      - .offset:         200
        .size:           4
        .value_kind:     by_value
      - .offset:         204
        .size:           4
        .value_kind:     by_value
      - .offset:         208
        .size:           4
        .value_kind:     by_value
      - .offset:         212
        .size:           4
        .value_kind:     by_value
      - .offset:         216
        .size:           4
        .value_kind:     by_value
      - .offset:         220
        .size:           4
        .value_kind:     by_value
      - .offset:         224
        .size:           4
        .value_kind:     by_value
      - .offset:         228
        .size:           4
        .value_kind:     by_value
      - .offset:         232
        .size:           4
        .value_kind:     by_value
      - .offset:         236
        .size:           4
        .value_kind:     by_value
      - .offset:         240
        .size:           4
        .value_kind:     by_value
      - .offset:         244
        .size:           4
        .value_kind:     by_value
      - .offset:         248
        .size:           4
        .value_kind:     by_value
      - .offset:         252
        .size:           4
        .value_kind:     by_value
      - .offset:         256
        .size:           4
        .value_kind:     by_value
      - .offset:         260
        .size:           4
        .value_kind:     by_value
      - .offset:         264
        .size:           4
        .value_kind:     by_value
      - .offset:         268
        .size:           4
        .value_kind:     by_value
      - .offset:         272
        .size:           4
        .value_kind:     hidden_block_count_x
      - .offset:         276
        .size:           4
        .value_kind:     hidden_block_count_y
      - .offset:         280
        .size:           4
        .value_kind:     hidden_block_count_z
      - .offset:         284
        .size:           2
        .value_kind:     hidden_group_size_x
      - .offset:         286
        .size:           2
        .value_kind:     hidden_group_size_y
      - .offset:         288
        .size:           2
        .value_kind:     hidden_group_size_z
      - .offset:         290
        .size:           2
        .value_kind:     hidden_remainder_x
      - .offset:         292
        .size:           2
        .value_kind:     hidden_remainder_y
      - .offset:         294
        .size:           2
        .value_kind:     hidden_remainder_z
      - .offset:         312
        .size:           8
        .value_kind:     hidden_global_offset_x
      - .offset:         320
        .size:           8
        .value_kind:     hidden_global_offset_y
      - .offset:         328
        .size:           8
        .value_kind:     hidden_global_offset_z
      - .offset:         336
        .size:           2
        .value_kind:     hidden_grid_dims
    .group_segment_fixed_size: 0
    .kernarg_segment_align: 8
    .kernarg_segment_size: 528
    .language:       OpenCL C
    .language_version:
      - 2
      - 0
    .max_flat_workgroup_size: 1024
    .name:           naive_conv_ab_nonpacked_wrw_ncdhw_float_double_float
    .private_segment_fixed_size: 0
    .sgpr_count:     99
    .sgpr_spill_count: 0
    .symbol:         naive_conv_ab_nonpacked_wrw_ncdhw_float_double_float.kd
    .uniform_work_group_size: 1
    .uses_dynamic_stack: false
    .vgpr_count:     26
    .vgpr_spill_count: 0
    .wavefront_size: 32
  - .args:
      - .actual_access:  read_only
        .address_space:  global
        .offset:         0
        .size:           8
        .value_kind:     global_buffer
      - .address_space:  global
        .offset:         8
        .size:           8
        .value_kind:     global_buffer
      - .offset:         16
        .size:           8
        .value_kind:     by_value
      - .offset:         24
        .size:           8
        .value_kind:     by_value
      - .actual_access:  read_only
        .address_space:  global
        .offset:         32
        .size:           8
        .value_kind:     global_buffer
      - .offset:         40
        .size:           48
        .value_kind:     by_value
      - .offset:         88
        .size:           48
        .value_kind:     by_value
      - .offset:         136
        .size:           48
        .value_kind:     by_value
      - .offset:         184
        .size:           4
        .value_kind:     by_value
      - .offset:         188
        .size:           4
        .value_kind:     by_value
      - .offset:         192
        .size:           4
        .value_kind:     by_value
      - .offset:         196
        .size:           4
        .value_kind:     by_value
      - .offset:         200
        .size:           4
        .value_kind:     by_value
      - .offset:         204
        .size:           4
        .value_kind:     by_value
      - .offset:         208
        .size:           4
        .value_kind:     by_value
      - .offset:         212
        .size:           4
        .value_kind:     by_value
      - .offset:         216
        .size:           4
        .value_kind:     by_value
      - .offset:         220
        .size:           4
        .value_kind:     by_value
      - .offset:         224
        .size:           4
        .value_kind:     by_value
      - .offset:         228
        .size:           4
        .value_kind:     by_value
      - .offset:         232
        .size:           4
        .value_kind:     by_value
      - .offset:         236
        .size:           4
        .value_kind:     by_value
      - .offset:         240
        .size:           4
        .value_kind:     by_value
      - .offset:         244
        .size:           4
        .value_kind:     by_value
      - .offset:         248
        .size:           4
        .value_kind:     by_value
      - .offset:         252
        .size:           4
        .value_kind:     by_value
      - .offset:         256
        .size:           4
        .value_kind:     by_value
      - .offset:         260
        .size:           4
        .value_kind:     by_value
      - .offset:         264
        .size:           4
        .value_kind:     by_value
      - .offset:         268
        .size:           4
        .value_kind:     by_value
      - .offset:         272
        .size:           4
        .value_kind:     hidden_block_count_x
      - .offset:         276
        .size:           4
        .value_kind:     hidden_block_count_y
      - .offset:         280
        .size:           4
        .value_kind:     hidden_block_count_z
      - .offset:         284
        .size:           2
        .value_kind:     hidden_group_size_x
      - .offset:         286
        .size:           2
        .value_kind:     hidden_group_size_y
      - .offset:         288
        .size:           2
        .value_kind:     hidden_group_size_z
      - .offset:         290
        .size:           2
        .value_kind:     hidden_remainder_x
      - .offset:         292
        .size:           2
        .value_kind:     hidden_remainder_y
      - .offset:         294
        .size:           2
        .value_kind:     hidden_remainder_z
      - .offset:         312
        .size:           8
        .value_kind:     hidden_global_offset_x
      - .offset:         320
        .size:           8
        .value_kind:     hidden_global_offset_y
      - .offset:         328
        .size:           8
        .value_kind:     hidden_global_offset_z
      - .offset:         336
        .size:           2
        .value_kind:     hidden_grid_dims
    .group_segment_fixed_size: 0
    .kernarg_segment_align: 8
    .kernarg_segment_size: 528
    .language:       OpenCL C
    .language_version:
      - 2
      - 0
    .max_flat_workgroup_size: 1024
    .name:           naive_conv_ab_packed_wrw_ncdhw_half_double_half
    .private_segment_fixed_size: 0
    .sgpr_count:     87
    .sgpr_spill_count: 0
    .symbol:         naive_conv_ab_packed_wrw_ncdhw_half_double_half.kd
    .uniform_work_group_size: 1
    .uses_dynamic_stack: false
    .vgpr_count:     24
    .vgpr_spill_count: 0
    .wavefront_size: 32
  - .args:
      - .actual_access:  read_only
        .address_space:  global
        .offset:         0
        .size:           8
        .value_kind:     global_buffer
      - .address_space:  global
        .offset:         8
        .size:           8
        .value_kind:     global_buffer
      - .offset:         16
        .size:           8
        .value_kind:     by_value
      - .offset:         24
        .size:           8
        .value_kind:     by_value
      - .actual_access:  read_only
        .address_space:  global
        .offset:         32
        .size:           8
        .value_kind:     global_buffer
      - .offset:         40
        .size:           48
        .value_kind:     by_value
      - .offset:         88
        .size:           48
        .value_kind:     by_value
      - .offset:         136
        .size:           48
        .value_kind:     by_value
      - .offset:         184
        .size:           4
        .value_kind:     by_value
      - .offset:         188
        .size:           4
        .value_kind:     by_value
      - .offset:         192
        .size:           4
        .value_kind:     by_value
      - .offset:         196
        .size:           4
        .value_kind:     by_value
      - .offset:         200
        .size:           4
        .value_kind:     by_value
      - .offset:         204
        .size:           4
        .value_kind:     by_value
      - .offset:         208
        .size:           4
        .value_kind:     by_value
      - .offset:         212
        .size:           4
        .value_kind:     by_value
      - .offset:         216
        .size:           4
        .value_kind:     by_value
      - .offset:         220
        .size:           4
        .value_kind:     by_value
      - .offset:         224
        .size:           4
        .value_kind:     by_value
      - .offset:         228
        .size:           4
        .value_kind:     by_value
      - .offset:         232
        .size:           4
        .value_kind:     by_value
      - .offset:         236
        .size:           4
        .value_kind:     by_value
      - .offset:         240
        .size:           4
        .value_kind:     by_value
      - .offset:         244
        .size:           4
        .value_kind:     by_value
      - .offset:         248
        .size:           4
        .value_kind:     by_value
      - .offset:         252
        .size:           4
        .value_kind:     by_value
      - .offset:         256
        .size:           4
        .value_kind:     by_value
      - .offset:         260
        .size:           4
        .value_kind:     by_value
      - .offset:         264
        .size:           4
        .value_kind:     by_value
      - .offset:         268
        .size:           4
        .value_kind:     by_value
      - .offset:         272
        .size:           4
        .value_kind:     hidden_block_count_x
      - .offset:         276
        .size:           4
        .value_kind:     hidden_block_count_y
      - .offset:         280
        .size:           4
        .value_kind:     hidden_block_count_z
      - .offset:         284
        .size:           2
        .value_kind:     hidden_group_size_x
      - .offset:         286
        .size:           2
        .value_kind:     hidden_group_size_y
      - .offset:         288
        .size:           2
        .value_kind:     hidden_group_size_z
      - .offset:         290
        .size:           2
        .value_kind:     hidden_remainder_x
      - .offset:         292
        .size:           2
        .value_kind:     hidden_remainder_y
      - .offset:         294
        .size:           2
        .value_kind:     hidden_remainder_z
      - .offset:         312
        .size:           8
        .value_kind:     hidden_global_offset_x
      - .offset:         320
        .size:           8
        .value_kind:     hidden_global_offset_y
      - .offset:         328
        .size:           8
        .value_kind:     hidden_global_offset_z
      - .offset:         336
        .size:           2
        .value_kind:     hidden_grid_dims
    .group_segment_fixed_size: 0
    .kernarg_segment_align: 8
    .kernarg_segment_size: 528
    .language:       OpenCL C
    .language_version:
      - 2
      - 0
    .max_flat_workgroup_size: 1024
    .name:           naive_conv_ab_nonpacked_wrw_ncdhw_half_double_half
    .private_segment_fixed_size: 0
    .sgpr_count:     99
    .sgpr_spill_count: 0
    .symbol:         naive_conv_ab_nonpacked_wrw_ncdhw_half_double_half.kd
    .uniform_work_group_size: 1
    .uses_dynamic_stack: false
    .vgpr_count:     26
    .vgpr_spill_count: 0
    .wavefront_size: 32
  - .args:
      - .actual_access:  read_only
        .address_space:  global
        .offset:         0
        .size:           8
        .value_kind:     global_buffer
      - .address_space:  global
        .offset:         8
        .size:           8
        .value_kind:     global_buffer
      - .offset:         16
        .size:           8
        .value_kind:     by_value
      - .offset:         24
        .size:           8
        .value_kind:     by_value
      - .actual_access:  read_only
        .address_space:  global
        .offset:         32
        .size:           8
        .value_kind:     global_buffer
      - .offset:         40
        .size:           48
        .value_kind:     by_value
      - .offset:         88
        .size:           48
        .value_kind:     by_value
      - .offset:         136
        .size:           48
        .value_kind:     by_value
      - .offset:         184
        .size:           4
        .value_kind:     by_value
      - .offset:         188
        .size:           4
        .value_kind:     by_value
      - .offset:         192
        .size:           4
        .value_kind:     by_value
      - .offset:         196
        .size:           4
        .value_kind:     by_value
      - .offset:         200
        .size:           4
        .value_kind:     by_value
      - .offset:         204
        .size:           4
        .value_kind:     by_value
      - .offset:         208
        .size:           4
        .value_kind:     by_value
      - .offset:         212
        .size:           4
        .value_kind:     by_value
      - .offset:         216
        .size:           4
        .value_kind:     by_value
      - .offset:         220
        .size:           4
        .value_kind:     by_value
      - .offset:         224
        .size:           4
        .value_kind:     by_value
      - .offset:         228
        .size:           4
        .value_kind:     by_value
      - .offset:         232
        .size:           4
        .value_kind:     by_value
      - .offset:         236
        .size:           4
        .value_kind:     by_value
      - .offset:         240
        .size:           4
        .value_kind:     by_value
      - .offset:         244
        .size:           4
        .value_kind:     by_value
      - .offset:         248
        .size:           4
        .value_kind:     by_value
      - .offset:         252
        .size:           4
        .value_kind:     by_value
      - .offset:         256
        .size:           4
        .value_kind:     by_value
      - .offset:         260
        .size:           4
        .value_kind:     by_value
      - .offset:         264
        .size:           4
        .value_kind:     by_value
      - .offset:         268
        .size:           4
        .value_kind:     by_value
      - .offset:         272
        .size:           4
        .value_kind:     hidden_block_count_x
      - .offset:         276
        .size:           4
        .value_kind:     hidden_block_count_y
      - .offset:         280
        .size:           4
        .value_kind:     hidden_block_count_z
      - .offset:         284
        .size:           2
        .value_kind:     hidden_group_size_x
      - .offset:         286
        .size:           2
        .value_kind:     hidden_group_size_y
      - .offset:         288
        .size:           2
        .value_kind:     hidden_group_size_z
      - .offset:         290
        .size:           2
        .value_kind:     hidden_remainder_x
      - .offset:         292
        .size:           2
        .value_kind:     hidden_remainder_y
      - .offset:         294
        .size:           2
        .value_kind:     hidden_remainder_z
      - .offset:         312
        .size:           8
        .value_kind:     hidden_global_offset_x
      - .offset:         320
        .size:           8
        .value_kind:     hidden_global_offset_y
      - .offset:         328
        .size:           8
        .value_kind:     hidden_global_offset_z
      - .offset:         336
        .size:           2
        .value_kind:     hidden_grid_dims
    .group_segment_fixed_size: 0
    .kernarg_segment_align: 8
    .kernarg_segment_size: 528
    .language:       OpenCL C
    .language_version:
      - 2
      - 0
    .max_flat_workgroup_size: 1024
    .name:           naive_conv_ab_packed_wrw_ncdhw_ushort_double_ushort
    .private_segment_fixed_size: 0
    .sgpr_count:     87
    .sgpr_spill_count: 0
    .symbol:         naive_conv_ab_packed_wrw_ncdhw_ushort_double_ushort.kd
    .uniform_work_group_size: 1
    .uses_dynamic_stack: false
    .vgpr_count:     24
    .vgpr_spill_count: 0
    .wavefront_size: 32
  - .args:
      - .actual_access:  read_only
        .address_space:  global
        .offset:         0
        .size:           8
        .value_kind:     global_buffer
      - .address_space:  global
        .offset:         8
        .size:           8
        .value_kind:     global_buffer
      - .offset:         16
        .size:           8
        .value_kind:     by_value
      - .offset:         24
        .size:           8
        .value_kind:     by_value
      - .actual_access:  read_only
        .address_space:  global
        .offset:         32
        .size:           8
        .value_kind:     global_buffer
      - .offset:         40
        .size:           48
        .value_kind:     by_value
      - .offset:         88
        .size:           48
        .value_kind:     by_value
      - .offset:         136
        .size:           48
        .value_kind:     by_value
      - .offset:         184
        .size:           4
        .value_kind:     by_value
      - .offset:         188
        .size:           4
        .value_kind:     by_value
      - .offset:         192
        .size:           4
        .value_kind:     by_value
      - .offset:         196
        .size:           4
        .value_kind:     by_value
      - .offset:         200
        .size:           4
        .value_kind:     by_value
      - .offset:         204
        .size:           4
        .value_kind:     by_value
      - .offset:         208
        .size:           4
        .value_kind:     by_value
      - .offset:         212
        .size:           4
        .value_kind:     by_value
      - .offset:         216
        .size:           4
        .value_kind:     by_value
      - .offset:         220
        .size:           4
        .value_kind:     by_value
      - .offset:         224
        .size:           4
        .value_kind:     by_value
      - .offset:         228
        .size:           4
        .value_kind:     by_value
      - .offset:         232
        .size:           4
        .value_kind:     by_value
      - .offset:         236
        .size:           4
        .value_kind:     by_value
      - .offset:         240
        .size:           4
        .value_kind:     by_value
      - .offset:         244
        .size:           4
        .value_kind:     by_value
      - .offset:         248
        .size:           4
        .value_kind:     by_value
      - .offset:         252
        .size:           4
        .value_kind:     by_value
      - .offset:         256
        .size:           4
        .value_kind:     by_value
      - .offset:         260
        .size:           4
        .value_kind:     by_value
      - .offset:         264
        .size:           4
        .value_kind:     by_value
      - .offset:         268
        .size:           4
        .value_kind:     by_value
      - .offset:         272
        .size:           4
        .value_kind:     hidden_block_count_x
      - .offset:         276
        .size:           4
        .value_kind:     hidden_block_count_y
      - .offset:         280
        .size:           4
        .value_kind:     hidden_block_count_z
      - .offset:         284
        .size:           2
        .value_kind:     hidden_group_size_x
      - .offset:         286
        .size:           2
        .value_kind:     hidden_group_size_y
      - .offset:         288
        .size:           2
        .value_kind:     hidden_group_size_z
      - .offset:         290
        .size:           2
        .value_kind:     hidden_remainder_x
      - .offset:         292
        .size:           2
        .value_kind:     hidden_remainder_y
      - .offset:         294
        .size:           2
        .value_kind:     hidden_remainder_z
      - .offset:         312
        .size:           8
        .value_kind:     hidden_global_offset_x
      - .offset:         320
        .size:           8
        .value_kind:     hidden_global_offset_y
      - .offset:         328
        .size:           8
        .value_kind:     hidden_global_offset_z
      - .offset:         336
        .size:           2
        .value_kind:     hidden_grid_dims
    .group_segment_fixed_size: 0
    .kernarg_segment_align: 8
    .kernarg_segment_size: 528
    .language:       OpenCL C
    .language_version:
      - 2
      - 0
    .max_flat_workgroup_size: 1024
    .name:           naive_conv_ab_nonpacked_wrw_ncdhw_ushort_double_ushort
    .private_segment_fixed_size: 0
    .sgpr_count:     99
    .sgpr_spill_count: 0
    .symbol:         naive_conv_ab_nonpacked_wrw_ncdhw_ushort_double_ushort.kd
    .uniform_work_group_size: 1
    .uses_dynamic_stack: false
    .vgpr_count:     26
    .vgpr_spill_count: 0
    .wavefront_size: 32
  - .args:
      - .actual_access:  read_only
        .address_space:  global
        .offset:         0
        .size:           8
        .value_kind:     global_buffer
      - .address_space:  global
        .offset:         8
        .size:           8
        .value_kind:     global_buffer
      - .offset:         16
        .size:           8
        .value_kind:     by_value
      - .offset:         24
        .size:           8
        .value_kind:     by_value
      - .actual_access:  read_only
        .address_space:  global
        .offset:         32
        .size:           8
        .value_kind:     global_buffer
      - .offset:         40
        .size:           48
        .value_kind:     by_value
      - .offset:         88
        .size:           48
        .value_kind:     by_value
      - .offset:         136
        .size:           48
        .value_kind:     by_value
      - .offset:         184
        .size:           4
        .value_kind:     by_value
      - .offset:         188
        .size:           4
        .value_kind:     by_value
      - .offset:         192
        .size:           4
        .value_kind:     by_value
      - .offset:         196
        .size:           4
        .value_kind:     by_value
      - .offset:         200
        .size:           4
        .value_kind:     by_value
      - .offset:         204
        .size:           4
        .value_kind:     by_value
      - .offset:         208
        .size:           4
        .value_kind:     by_value
      - .offset:         212
        .size:           4
        .value_kind:     by_value
      - .offset:         216
        .size:           4
        .value_kind:     by_value
      - .offset:         220
        .size:           4
        .value_kind:     by_value
      - .offset:         224
        .size:           4
        .value_kind:     by_value
      - .offset:         228
        .size:           4
        .value_kind:     by_value
      - .offset:         232
        .size:           4
        .value_kind:     by_value
      - .offset:         236
        .size:           4
        .value_kind:     by_value
      - .offset:         240
        .size:           4
        .value_kind:     by_value
      - .offset:         244
        .size:           4
        .value_kind:     by_value
      - .offset:         248
        .size:           4
        .value_kind:     by_value
      - .offset:         252
        .size:           4
        .value_kind:     by_value
      - .offset:         256
        .size:           4
        .value_kind:     by_value
      - .offset:         260
        .size:           4
        .value_kind:     by_value
      - .offset:         264
        .size:           4
        .value_kind:     by_value
      - .offset:         268
        .size:           4
        .value_kind:     by_value
      - .offset:         272
        .size:           4
        .value_kind:     hidden_block_count_x
      - .offset:         276
        .size:           4
        .value_kind:     hidden_block_count_y
      - .offset:         280
        .size:           4
        .value_kind:     hidden_block_count_z
      - .offset:         284
        .size:           2
        .value_kind:     hidden_group_size_x
      - .offset:         286
        .size:           2
        .value_kind:     hidden_group_size_y
      - .offset:         288
        .size:           2
        .value_kind:     hidden_group_size_z
      - .offset:         290
        .size:           2
        .value_kind:     hidden_remainder_x
      - .offset:         292
        .size:           2
        .value_kind:     hidden_remainder_y
      - .offset:         294
        .size:           2
        .value_kind:     hidden_remainder_z
      - .offset:         312
        .size:           8
        .value_kind:     hidden_global_offset_x
      - .offset:         320
        .size:           8
        .value_kind:     hidden_global_offset_y
      - .offset:         328
        .size:           8
        .value_kind:     hidden_global_offset_z
      - .offset:         336
        .size:           2
        .value_kind:     hidden_grid_dims
    .group_segment_fixed_size: 0
    .kernarg_segment_align: 8
    .kernarg_segment_size: 528
    .language:       OpenCL C
    .language_version:
      - 2
      - 0
    .max_flat_workgroup_size: 1024
    .name:           naive_conv_ab_packed_wrw_ndhwc_float_double_float
    .private_segment_fixed_size: 0
    .sgpr_count:     94
    .sgpr_spill_count: 0
    .symbol:         naive_conv_ab_packed_wrw_ndhwc_float_double_float.kd
    .uniform_work_group_size: 1
    .uses_dynamic_stack: false
    .vgpr_count:     24
    .vgpr_spill_count: 0
    .wavefront_size: 32
  - .args:
      - .actual_access:  read_only
        .address_space:  global
        .offset:         0
        .size:           8
        .value_kind:     global_buffer
      - .address_space:  global
        .offset:         8
        .size:           8
        .value_kind:     global_buffer
      - .offset:         16
        .size:           8
        .value_kind:     by_value
      - .offset:         24
        .size:           8
        .value_kind:     by_value
      - .actual_access:  read_only
        .address_space:  global
        .offset:         32
        .size:           8
        .value_kind:     global_buffer
      - .offset:         40
        .size:           48
        .value_kind:     by_value
      - .offset:         88
        .size:           48
        .value_kind:     by_value
      - .offset:         136
        .size:           48
        .value_kind:     by_value
      - .offset:         184
        .size:           4
        .value_kind:     by_value
      - .offset:         188
        .size:           4
        .value_kind:     by_value
      - .offset:         192
        .size:           4
        .value_kind:     by_value
      - .offset:         196
        .size:           4
        .value_kind:     by_value
      - .offset:         200
        .size:           4
        .value_kind:     by_value
      - .offset:         204
        .size:           4
        .value_kind:     by_value
      - .offset:         208
        .size:           4
        .value_kind:     by_value
      - .offset:         212
        .size:           4
        .value_kind:     by_value
      - .offset:         216
        .size:           4
        .value_kind:     by_value
      - .offset:         220
        .size:           4
        .value_kind:     by_value
      - .offset:         224
        .size:           4
        .value_kind:     by_value
      - .offset:         228
        .size:           4
        .value_kind:     by_value
      - .offset:         232
        .size:           4
        .value_kind:     by_value
      - .offset:         236
        .size:           4
        .value_kind:     by_value
      - .offset:         240
        .size:           4
        .value_kind:     by_value
      - .offset:         244
        .size:           4
        .value_kind:     by_value
      - .offset:         248
        .size:           4
        .value_kind:     by_value
      - .offset:         252
        .size:           4
        .value_kind:     by_value
      - .offset:         256
        .size:           4
        .value_kind:     by_value
      - .offset:         260
        .size:           4
        .value_kind:     by_value
      - .offset:         264
        .size:           4
        .value_kind:     by_value
      - .offset:         268
        .size:           4
        .value_kind:     by_value
      - .offset:         272
        .size:           4
        .value_kind:     hidden_block_count_x
      - .offset:         276
        .size:           4
        .value_kind:     hidden_block_count_y
      - .offset:         280
        .size:           4
        .value_kind:     hidden_block_count_z
      - .offset:         284
        .size:           2
        .value_kind:     hidden_group_size_x
      - .offset:         286
        .size:           2
        .value_kind:     hidden_group_size_y
      - .offset:         288
        .size:           2
        .value_kind:     hidden_group_size_z
      - .offset:         290
        .size:           2
        .value_kind:     hidden_remainder_x
      - .offset:         292
        .size:           2
        .value_kind:     hidden_remainder_y
      - .offset:         294
        .size:           2
        .value_kind:     hidden_remainder_z
      - .offset:         312
        .size:           8
        .value_kind:     hidden_global_offset_x
      - .offset:         320
        .size:           8
        .value_kind:     hidden_global_offset_y
      - .offset:         328
        .size:           8
        .value_kind:     hidden_global_offset_z
      - .offset:         336
        .size:           2
        .value_kind:     hidden_grid_dims
    .group_segment_fixed_size: 0
    .kernarg_segment_align: 8
    .kernarg_segment_size: 528
    .language:       OpenCL C
    .language_version:
      - 2
      - 0
    .max_flat_workgroup_size: 1024
    .name:           naive_conv_ab_nonpacked_wrw_ndhwc_float_double_float
    .private_segment_fixed_size: 0
    .sgpr_count:     99
    .sgpr_spill_count: 0
    .symbol:         naive_conv_ab_nonpacked_wrw_ndhwc_float_double_float.kd
    .uniform_work_group_size: 1
    .uses_dynamic_stack: false
    .vgpr_count:     26
    .vgpr_spill_count: 0
    .wavefront_size: 32
  - .args:
      - .actual_access:  read_only
        .address_space:  global
        .offset:         0
        .size:           8
        .value_kind:     global_buffer
      - .address_space:  global
        .offset:         8
        .size:           8
        .value_kind:     global_buffer
      - .offset:         16
        .size:           8
        .value_kind:     by_value
      - .offset:         24
        .size:           8
        .value_kind:     by_value
      - .actual_access:  read_only
        .address_space:  global
        .offset:         32
        .size:           8
        .value_kind:     global_buffer
      - .offset:         40
        .size:           48
        .value_kind:     by_value
      - .offset:         88
        .size:           48
        .value_kind:     by_value
      - .offset:         136
        .size:           48
        .value_kind:     by_value
      - .offset:         184
        .size:           4
        .value_kind:     by_value
      - .offset:         188
        .size:           4
        .value_kind:     by_value
      - .offset:         192
        .size:           4
        .value_kind:     by_value
      - .offset:         196
        .size:           4
        .value_kind:     by_value
      - .offset:         200
        .size:           4
        .value_kind:     by_value
      - .offset:         204
        .size:           4
        .value_kind:     by_value
      - .offset:         208
        .size:           4
        .value_kind:     by_value
      - .offset:         212
        .size:           4
        .value_kind:     by_value
      - .offset:         216
        .size:           4
        .value_kind:     by_value
      - .offset:         220
        .size:           4
        .value_kind:     by_value
      - .offset:         224
        .size:           4
        .value_kind:     by_value
      - .offset:         228
        .size:           4
        .value_kind:     by_value
      - .offset:         232
        .size:           4
        .value_kind:     by_value
      - .offset:         236
        .size:           4
        .value_kind:     by_value
      - .offset:         240
        .size:           4
        .value_kind:     by_value
      - .offset:         244
        .size:           4
        .value_kind:     by_value
      - .offset:         248
        .size:           4
        .value_kind:     by_value
      - .offset:         252
        .size:           4
        .value_kind:     by_value
      - .offset:         256
        .size:           4
        .value_kind:     by_value
      - .offset:         260
        .size:           4
        .value_kind:     by_value
      - .offset:         264
        .size:           4
        .value_kind:     by_value
      - .offset:         268
        .size:           4
        .value_kind:     by_value
      - .offset:         272
        .size:           4
        .value_kind:     hidden_block_count_x
      - .offset:         276
        .size:           4
        .value_kind:     hidden_block_count_y
      - .offset:         280
        .size:           4
        .value_kind:     hidden_block_count_z
      - .offset:         284
        .size:           2
        .value_kind:     hidden_group_size_x
      - .offset:         286
        .size:           2
        .value_kind:     hidden_group_size_y
      - .offset:         288
        .size:           2
        .value_kind:     hidden_group_size_z
      - .offset:         290
        .size:           2
        .value_kind:     hidden_remainder_x
      - .offset:         292
        .size:           2
        .value_kind:     hidden_remainder_y
      - .offset:         294
        .size:           2
        .value_kind:     hidden_remainder_z
      - .offset:         312
        .size:           8
        .value_kind:     hidden_global_offset_x
      - .offset:         320
        .size:           8
        .value_kind:     hidden_global_offset_y
      - .offset:         328
        .size:           8
        .value_kind:     hidden_global_offset_z
      - .offset:         336
        .size:           2
        .value_kind:     hidden_grid_dims
    .group_segment_fixed_size: 0
    .kernarg_segment_align: 8
    .kernarg_segment_size: 528
    .language:       OpenCL C
    .language_version:
      - 2
      - 0
    .max_flat_workgroup_size: 1024
    .name:           naive_conv_ab_packed_wrw_ndhwc_half_double_half
    .private_segment_fixed_size: 0
    .sgpr_count:     94
    .sgpr_spill_count: 0
    .symbol:         naive_conv_ab_packed_wrw_ndhwc_half_double_half.kd
    .uniform_work_group_size: 1
    .uses_dynamic_stack: false
    .vgpr_count:     24
    .vgpr_spill_count: 0
    .wavefront_size: 32
  - .args:
      - .actual_access:  read_only
        .address_space:  global
        .offset:         0
        .size:           8
        .value_kind:     global_buffer
      - .address_space:  global
        .offset:         8
        .size:           8
        .value_kind:     global_buffer
      - .offset:         16
        .size:           8
        .value_kind:     by_value
      - .offset:         24
        .size:           8
        .value_kind:     by_value
      - .actual_access:  read_only
        .address_space:  global
        .offset:         32
        .size:           8
        .value_kind:     global_buffer
      - .offset:         40
        .size:           48
        .value_kind:     by_value
      - .offset:         88
        .size:           48
        .value_kind:     by_value
      - .offset:         136
        .size:           48
        .value_kind:     by_value
      - .offset:         184
        .size:           4
        .value_kind:     by_value
      - .offset:         188
        .size:           4
        .value_kind:     by_value
      - .offset:         192
        .size:           4
        .value_kind:     by_value
      - .offset:         196
        .size:           4
        .value_kind:     by_value
      - .offset:         200
        .size:           4
        .value_kind:     by_value
      - .offset:         204
        .size:           4
        .value_kind:     by_value
      - .offset:         208
        .size:           4
        .value_kind:     by_value
      - .offset:         212
        .size:           4
        .value_kind:     by_value
      - .offset:         216
        .size:           4
        .value_kind:     by_value
      - .offset:         220
        .size:           4
        .value_kind:     by_value
      - .offset:         224
        .size:           4
        .value_kind:     by_value
      - .offset:         228
        .size:           4
        .value_kind:     by_value
      - .offset:         232
        .size:           4
        .value_kind:     by_value
      - .offset:         236
        .size:           4
        .value_kind:     by_value
      - .offset:         240
        .size:           4
        .value_kind:     by_value
      - .offset:         244
        .size:           4
        .value_kind:     by_value
      - .offset:         248
        .size:           4
        .value_kind:     by_value
      - .offset:         252
        .size:           4
        .value_kind:     by_value
      - .offset:         256
        .size:           4
        .value_kind:     by_value
      - .offset:         260
        .size:           4
        .value_kind:     by_value
      - .offset:         264
        .size:           4
        .value_kind:     by_value
      - .offset:         268
        .size:           4
        .value_kind:     by_value
      - .offset:         272
        .size:           4
        .value_kind:     hidden_block_count_x
      - .offset:         276
        .size:           4
        .value_kind:     hidden_block_count_y
      - .offset:         280
        .size:           4
        .value_kind:     hidden_block_count_z
      - .offset:         284
        .size:           2
        .value_kind:     hidden_group_size_x
      - .offset:         286
        .size:           2
        .value_kind:     hidden_group_size_y
      - .offset:         288
        .size:           2
        .value_kind:     hidden_group_size_z
      - .offset:         290
        .size:           2
        .value_kind:     hidden_remainder_x
      - .offset:         292
        .size:           2
        .value_kind:     hidden_remainder_y
      - .offset:         294
        .size:           2
        .value_kind:     hidden_remainder_z
      - .offset:         312
        .size:           8
        .value_kind:     hidden_global_offset_x
      - .offset:         320
        .size:           8
        .value_kind:     hidden_global_offset_y
      - .offset:         328
        .size:           8
        .value_kind:     hidden_global_offset_z
      - .offset:         336
        .size:           2
        .value_kind:     hidden_grid_dims
    .group_segment_fixed_size: 0
    .kernarg_segment_align: 8
    .kernarg_segment_size: 528
    .language:       OpenCL C
    .language_version:
      - 2
      - 0
    .max_flat_workgroup_size: 1024
    .name:           naive_conv_ab_nonpacked_wrw_ndhwc_half_double_half
    .private_segment_fixed_size: 0
    .sgpr_count:     99
    .sgpr_spill_count: 0
    .symbol:         naive_conv_ab_nonpacked_wrw_ndhwc_half_double_half.kd
    .uniform_work_group_size: 1
    .uses_dynamic_stack: false
    .vgpr_count:     26
    .vgpr_spill_count: 0
    .wavefront_size: 32
  - .args:
      - .actual_access:  read_only
        .address_space:  global
        .offset:         0
        .size:           8
        .value_kind:     global_buffer
      - .address_space:  global
        .offset:         8
        .size:           8
        .value_kind:     global_buffer
      - .offset:         16
        .size:           8
        .value_kind:     by_value
      - .offset:         24
        .size:           8
        .value_kind:     by_value
      - .actual_access:  read_only
        .address_space:  global
        .offset:         32
        .size:           8
        .value_kind:     global_buffer
      - .offset:         40
        .size:           48
        .value_kind:     by_value
      - .offset:         88
        .size:           48
        .value_kind:     by_value
      - .offset:         136
        .size:           48
        .value_kind:     by_value
      - .offset:         184
        .size:           4
        .value_kind:     by_value
      - .offset:         188
        .size:           4
        .value_kind:     by_value
      - .offset:         192
        .size:           4
        .value_kind:     by_value
      - .offset:         196
        .size:           4
        .value_kind:     by_value
      - .offset:         200
        .size:           4
        .value_kind:     by_value
      - .offset:         204
        .size:           4
        .value_kind:     by_value
      - .offset:         208
        .size:           4
        .value_kind:     by_value
      - .offset:         212
        .size:           4
        .value_kind:     by_value
      - .offset:         216
        .size:           4
        .value_kind:     by_value
      - .offset:         220
        .size:           4
        .value_kind:     by_value
      - .offset:         224
        .size:           4
        .value_kind:     by_value
      - .offset:         228
        .size:           4
        .value_kind:     by_value
      - .offset:         232
        .size:           4
        .value_kind:     by_value
      - .offset:         236
        .size:           4
        .value_kind:     by_value
      - .offset:         240
        .size:           4
        .value_kind:     by_value
      - .offset:         244
        .size:           4
        .value_kind:     by_value
      - .offset:         248
        .size:           4
        .value_kind:     by_value
      - .offset:         252
        .size:           4
        .value_kind:     by_value
      - .offset:         256
        .size:           4
        .value_kind:     by_value
      - .offset:         260
        .size:           4
        .value_kind:     by_value
      - .offset:         264
        .size:           4
        .value_kind:     by_value
      - .offset:         268
        .size:           4
        .value_kind:     by_value
      - .offset:         272
        .size:           4
        .value_kind:     hidden_block_count_x
      - .offset:         276
        .size:           4
        .value_kind:     hidden_block_count_y
      - .offset:         280
        .size:           4
        .value_kind:     hidden_block_count_z
      - .offset:         284
        .size:           2
        .value_kind:     hidden_group_size_x
      - .offset:         286
        .size:           2
        .value_kind:     hidden_group_size_y
      - .offset:         288
        .size:           2
        .value_kind:     hidden_group_size_z
      - .offset:         290
        .size:           2
        .value_kind:     hidden_remainder_x
      - .offset:         292
        .size:           2
        .value_kind:     hidden_remainder_y
      - .offset:         294
        .size:           2
        .value_kind:     hidden_remainder_z
      - .offset:         312
        .size:           8
        .value_kind:     hidden_global_offset_x
      - .offset:         320
        .size:           8
        .value_kind:     hidden_global_offset_y
      - .offset:         328
        .size:           8
        .value_kind:     hidden_global_offset_z
      - .offset:         336
        .size:           2
        .value_kind:     hidden_grid_dims
    .group_segment_fixed_size: 0
    .kernarg_segment_align: 8
    .kernarg_segment_size: 528
    .language:       OpenCL C
    .language_version:
      - 2
      - 0
    .max_flat_workgroup_size: 1024
    .name:           naive_conv_ab_packed_wrw_ndhwc_ushort_double_ushort
    .private_segment_fixed_size: 0
    .sgpr_count:     94
    .sgpr_spill_count: 0
    .symbol:         naive_conv_ab_packed_wrw_ndhwc_ushort_double_ushort.kd
    .uniform_work_group_size: 1
    .uses_dynamic_stack: false
    .vgpr_count:     24
    .vgpr_spill_count: 0
    .wavefront_size: 32
  - .args:
      - .actual_access:  read_only
        .address_space:  global
        .offset:         0
        .size:           8
        .value_kind:     global_buffer
      - .address_space:  global
        .offset:         8
        .size:           8
        .value_kind:     global_buffer
      - .offset:         16
        .size:           8
        .value_kind:     by_value
      - .offset:         24
        .size:           8
        .value_kind:     by_value
      - .actual_access:  read_only
        .address_space:  global
        .offset:         32
        .size:           8
        .value_kind:     global_buffer
      - .offset:         40
        .size:           48
        .value_kind:     by_value
      - .offset:         88
        .size:           48
        .value_kind:     by_value
      - .offset:         136
        .size:           48
        .value_kind:     by_value
      - .offset:         184
        .size:           4
        .value_kind:     by_value
      - .offset:         188
        .size:           4
        .value_kind:     by_value
      - .offset:         192
        .size:           4
        .value_kind:     by_value
      - .offset:         196
        .size:           4
        .value_kind:     by_value
      - .offset:         200
        .size:           4
        .value_kind:     by_value
      - .offset:         204
        .size:           4
        .value_kind:     by_value
      - .offset:         208
        .size:           4
        .value_kind:     by_value
      - .offset:         212
        .size:           4
        .value_kind:     by_value
      - .offset:         216
        .size:           4
        .value_kind:     by_value
      - .offset:         220
        .size:           4
        .value_kind:     by_value
      - .offset:         224
        .size:           4
        .value_kind:     by_value
      - .offset:         228
        .size:           4
        .value_kind:     by_value
      - .offset:         232
        .size:           4
        .value_kind:     by_value
      - .offset:         236
        .size:           4
        .value_kind:     by_value
      - .offset:         240
        .size:           4
        .value_kind:     by_value
      - .offset:         244
        .size:           4
        .value_kind:     by_value
      - .offset:         248
        .size:           4
        .value_kind:     by_value
      - .offset:         252
        .size:           4
        .value_kind:     by_value
      - .offset:         256
        .size:           4
        .value_kind:     by_value
      - .offset:         260
        .size:           4
        .value_kind:     by_value
      - .offset:         264
        .size:           4
        .value_kind:     by_value
      - .offset:         268
        .size:           4
        .value_kind:     by_value
      - .offset:         272
        .size:           4
        .value_kind:     hidden_block_count_x
      - .offset:         276
        .size:           4
        .value_kind:     hidden_block_count_y
      - .offset:         280
        .size:           4
        .value_kind:     hidden_block_count_z
      - .offset:         284
        .size:           2
        .value_kind:     hidden_group_size_x
      - .offset:         286
        .size:           2
        .value_kind:     hidden_group_size_y
      - .offset:         288
        .size:           2
        .value_kind:     hidden_group_size_z
      - .offset:         290
        .size:           2
        .value_kind:     hidden_remainder_x
      - .offset:         292
        .size:           2
        .value_kind:     hidden_remainder_y
      - .offset:         294
        .size:           2
        .value_kind:     hidden_remainder_z
      - .offset:         312
        .size:           8
        .value_kind:     hidden_global_offset_x
      - .offset:         320
        .size:           8
        .value_kind:     hidden_global_offset_y
      - .offset:         328
        .size:           8
        .value_kind:     hidden_global_offset_z
      - .offset:         336
        .size:           2
        .value_kind:     hidden_grid_dims
    .group_segment_fixed_size: 0
    .kernarg_segment_align: 8
    .kernarg_segment_size: 528
    .language:       OpenCL C
    .language_version:
      - 2
      - 0
    .max_flat_workgroup_size: 1024
    .name:           naive_conv_ab_nonpacked_wrw_ndhwc_ushort_double_ushort
    .private_segment_fixed_size: 0
    .sgpr_count:     99
    .sgpr_spill_count: 0
    .symbol:         naive_conv_ab_nonpacked_wrw_ndhwc_ushort_double_ushort.kd
    .uniform_work_group_size: 1
    .uses_dynamic_stack: false
    .vgpr_count:     26
    .vgpr_spill_count: 0
    .wavefront_size: 32
amdhsa.target:   amdgcn-amd-amdhsa--gfx1250
amdhsa.version:
  - 1
  - 2
...

	.end_amdgpu_metadata
